;; amdgpu-corpus repo=ROCm/rocFFT kind=compiled arch=gfx906 opt=O3
	.text
	.amdgcn_target "amdgcn-amd-amdhsa--gfx906"
	.amdhsa_code_object_version 6
	.protected	bluestein_single_fwd_len1785_dim1_half_op_CI_CI ; -- Begin function bluestein_single_fwd_len1785_dim1_half_op_CI_CI
	.globl	bluestein_single_fwd_len1785_dim1_half_op_CI_CI
	.p2align	8
	.type	bluestein_single_fwd_len1785_dim1_half_op_CI_CI,@function
bluestein_single_fwd_len1785_dim1_half_op_CI_CI: ; @bluestein_single_fwd_len1785_dim1_half_op_CI_CI
; %bb.0:
	s_mov_b64 s[42:43], s[2:3]
	s_mov_b64 s[40:41], s[0:1]
	s_load_dwordx4 s[0:3], s[4:5], 0x28
	v_mul_u32_u24_e32 v1, 0x227, v0
	v_add_u32_sdwa v166, s6, v1 dst_sel:DWORD dst_unused:UNUSED_PAD src0_sel:DWORD src1_sel:WORD_1
	v_mov_b32_e32 v167, 0
	s_add_u32 s40, s40, s7
	s_waitcnt lgkmcnt(0)
	v_cmp_gt_u64_e32 vcc, s[0:1], v[166:167]
	s_addc_u32 s41, s41, 0
	s_and_saveexec_b64 s[0:1], vcc
	s_cbranch_execz .LBB0_23
; %bb.1:
	s_load_dwordx2 s[6:7], s[4:5], 0x0
	s_load_dwordx2 s[12:13], s[4:5], 0x38
	s_movk_i32 s0, 0x77
	v_mul_lo_u16_sdwa v1, v1, s0 dst_sel:DWORD dst_unused:UNUSED_PAD src0_sel:WORD_1 src1_sel:DWORD
	v_sub_u16_e32 v64, v0, v1
	s_movk_i32 s0, 0x69
	v_cmp_gt_u16_e64 s[0:1], s0, v64
	v_lshlrev_b32_e32 v63, 2, v64
	s_and_saveexec_b64 s[8:9], s[0:1]
	s_cbranch_execz .LBB0_3
; %bb.2:
	s_load_dwordx2 s[10:11], s[4:5], 0x18
	s_waitcnt lgkmcnt(0)
	v_mov_b32_e32 v12, s7
	v_add_u32_e32 v13, 0x200, v63
	s_load_dwordx4 s[16:19], s[10:11], 0x0
	s_waitcnt lgkmcnt(0)
	v_mad_u64_u32 v[0:1], s[10:11], s18, v166, 0
	v_mad_u64_u32 v[2:3], s[10:11], s16, v64, 0
	;; [unrolled: 1-line block ×4, first 2 shown]
	v_mov_b32_e32 v1, v4
	v_lshlrev_b64 v[0:1], 2, v[0:1]
	v_mov_b32_e32 v3, v5
	v_mov_b32_e32 v6, s3
	v_lshlrev_b64 v[2:3], 2, v[2:3]
	v_add_co_u32_e32 v0, vcc, s2, v0
	v_addc_co_u32_e32 v1, vcc, v6, v1, vcc
	v_add_co_u32_e32 v0, vcc, v0, v2
	s_mul_i32 s2, s17, 0x1a4
	s_mul_hi_u32 s3, s16, 0x1a4
	v_addc_co_u32_e32 v1, vcc, v1, v3, vcc
	s_add_i32 s2, s3, s2
	s_mul_i32 s3, s16, 0x1a4
	v_mov_b32_e32 v3, s2
	v_add_co_u32_e32 v2, vcc, s3, v0
	v_addc_co_u32_e32 v3, vcc, v1, v3, vcc
	global_load_dword v4, v[0:1], off
	global_load_dword v5, v[2:3], off
	global_load_dword v6, v63, s[6:7]
	global_load_dword v7, v63, s[6:7] offset:420
	v_mov_b32_e32 v1, s2
	v_add_co_u32_e32 v0, vcc, s3, v2
	v_addc_co_u32_e32 v1, vcc, v3, v1, vcc
	global_load_dword v2, v[0:1], off
	global_load_dword v3, v63, s[6:7] offset:840
	v_mov_b32_e32 v8, s2
	v_add_co_u32_e32 v0, vcc, s3, v0
	v_addc_co_u32_e32 v1, vcc, v1, v8, vcc
	global_load_dword v8, v[0:1], off
	;; [unrolled: 5-line block ×3, first 2 shown]
	global_load_dword v11, v63, s[6:7] offset:1680
	v_add_co_u32_e32 v17, vcc, s6, v63
	v_addc_co_u32_e32 v12, vcc, 0, v12, vcc
	v_mov_b32_e32 v18, s2
	v_add_co_u32_e32 v0, vcc, s3, v0
	v_addc_co_u32_e32 v1, vcc, v1, v18, vcc
	global_load_dword v14, v63, s[6:7] offset:2100
	global_load_dword v15, v63, s[6:7] offset:2520
	;; [unrolled: 1-line block ×3, first 2 shown]
	global_load_dword v18, v[0:1], off
	v_mov_b32_e32 v19, s2
	v_add_co_u32_e32 v0, vcc, s3, v0
	v_addc_co_u32_e32 v1, vcc, v1, v19, vcc
	global_load_dword v19, v[0:1], off
	v_mov_b32_e32 v20, s2
	v_add_co_u32_e32 v0, vcc, s3, v0
	v_addc_co_u32_e32 v1, vcc, v1, v20, vcc
	s_movk_i32 s10, 0x1000
	v_mov_b32_e32 v27, s2
	s_waitcnt vmcnt(14)
	v_lshrrev_b32_e32 v21, 16, v4
	s_waitcnt vmcnt(12)
	v_mul_f16_sdwa v22, v6, v4 dst_sel:DWORD dst_unused:UNUSED_PAD src0_sel:WORD_1 src1_sel:DWORD
	v_mul_f16_sdwa v23, v6, v21 dst_sel:DWORD dst_unused:UNUSED_PAD src0_sel:WORD_1 src1_sel:DWORD
	v_fma_f16 v21, v6, v21, -v22
	v_lshrrev_b32_e32 v22, 16, v5
	s_waitcnt vmcnt(11)
	v_mul_f16_sdwa v25, v7, v5 dst_sel:DWORD dst_unused:UNUSED_PAD src0_sel:WORD_1 src1_sel:DWORD
	v_fma_f16 v4, v6, v4, v23
	v_mul_f16_sdwa v6, v7, v22 dst_sel:DWORD dst_unused:UNUSED_PAD src0_sel:WORD_1 src1_sel:DWORD
	s_waitcnt vmcnt(10)
	v_lshrrev_b32_e32 v23, 16, v2
	v_fma_f16 v22, v7, v22, -v25
	s_waitcnt vmcnt(9)
	v_mul_f16_sdwa v25, v3, v2 dst_sel:DWORD dst_unused:UNUSED_PAD src0_sel:WORD_1 src1_sel:DWORD
	v_pack_b32_f16 v4, v4, v21
	v_fma_f16 v5, v7, v5, v6
	v_mul_f16_sdwa v6, v3, v23 dst_sel:DWORD dst_unused:UNUSED_PAD src0_sel:WORD_1 src1_sel:DWORD
	s_waitcnt vmcnt(8)
	v_lshrrev_b32_e32 v21, 16, v8
	v_fma_f16 v7, v3, v23, -v25
	s_waitcnt vmcnt(7)
	v_mul_f16_sdwa v23, v9, v8 dst_sel:DWORD dst_unused:UNUSED_PAD src0_sel:WORD_1 src1_sel:DWORD
	v_fma_f16 v2, v3, v2, v6
	v_mul_f16_sdwa v3, v9, v21 dst_sel:DWORD dst_unused:UNUSED_PAD src0_sel:WORD_1 src1_sel:DWORD
	v_fma_f16 v6, v9, v21, -v23
	v_fma_f16 v3, v9, v8, v3
	v_pack_b32_f16 v3, v3, v6
	global_load_dword v6, v[0:1], off
	v_pack_b32_f16 v5, v5, v22
	v_pack_b32_f16 v2, v2, v7
	ds_write2_b32 v63, v4, v5 offset1:105
	ds_write2_b32 v13, v2, v3 offset0:82 offset1:187
	v_mov_b32_e32 v2, s2
	v_add_co_u32_e32 v0, vcc, s3, v0
	v_addc_co_u32_e32 v1, vcc, v1, v2, vcc
	s_waitcnt vmcnt(7)
	v_lshrrev_b32_e32 v21, 16, v10
	global_load_dword v7, v[0:1], off
	v_add_co_u32_e32 v0, vcc, s3, v0
	s_waitcnt vmcnt(7)
	v_mul_f16_sdwa v4, v11, v21 dst_sel:DWORD dst_unused:UNUSED_PAD src0_sel:WORD_1 src1_sel:DWORD
	v_addc_co_u32_e32 v1, vcc, v1, v2, vcc
	v_mul_f16_sdwa v22, v11, v10 dst_sel:DWORD dst_unused:UNUSED_PAD src0_sel:WORD_1 src1_sel:DWORD
	v_fma_f16 v4, v11, v10, v4
	global_load_dword v8, v[0:1], off
	global_load_dword v9, v63, s[6:7] offset:3360
	global_load_dword v10, v63, s[6:7] offset:3780
	v_add_co_u32_e32 v0, vcc, s3, v0
	v_addc_co_u32_e32 v1, vcc, v1, v2, vcc
	v_add_co_u32_e32 v2, vcc, s10, v17
	v_fma_f16 v5, v11, v21, -v22
	global_load_dword v11, v[0:1], off
	v_addc_co_u32_e32 v3, vcc, 0, v12, vcc
	global_load_dword v12, v[2:3], off offset:104
	v_mov_b32_e32 v13, s2
	v_add_co_u32_e32 v0, vcc, s3, v0
	v_addc_co_u32_e32 v1, vcc, v1, v13, vcc
	global_load_dword v13, v[0:1], off
	global_load_dword v17, v[2:3], off offset:524
	v_add_co_u32_e32 v0, vcc, s3, v0
	v_addc_co_u32_e32 v1, vcc, v1, v20, vcc
	global_load_dword v20, v[0:1], off
	global_load_dword v21, v[2:3], off offset:944
	v_mov_b32_e32 v22, s2
	v_add_co_u32_e32 v0, vcc, s3, v0
	v_addc_co_u32_e32 v1, vcc, v1, v22, vcc
	global_load_dword v22, v[0:1], off
	global_load_dword v23, v[2:3], off offset:1364
	v_mov_b32_e32 v25, s2
	v_add_co_u32_e32 v0, vcc, s3, v0
	v_addc_co_u32_e32 v1, vcc, v1, v25, vcc
	global_load_dword v25, v[0:1], off
	global_load_dword v26, v[2:3], off offset:1784
	v_add_co_u32_e32 v0, vcc, s3, v0
	v_addc_co_u32_e32 v1, vcc, v1, v27, vcc
	global_load_dword v27, v[0:1], off
	global_load_dword v28, v[2:3], off offset:2204
	v_pack_b32_f16 v4, v4, v5
	v_mov_b32_e32 v5, s2
	v_add_co_u32_e32 v0, vcc, s3, v0
	v_addc_co_u32_e32 v1, vcc, v1, v5, vcc
	global_load_dword v5, v[0:1], off
	global_load_dword v29, v[2:3], off offset:2624
	s_waitcnt vmcnt(20)
	v_lshrrev_b32_e32 v0, 16, v18
	v_mul_f16_sdwa v1, v14, v0 dst_sel:DWORD dst_unused:UNUSED_PAD src0_sel:WORD_1 src1_sel:DWORD
	v_mul_f16_sdwa v2, v14, v18 dst_sel:DWORD dst_unused:UNUSED_PAD src0_sel:WORD_1 src1_sel:DWORD
	v_fma_f16 v1, v14, v18, v1
	v_fma_f16 v0, v14, v0, -v2
	v_pack_b32_f16 v0, v1, v0
	v_add_u32_e32 v1, 0x600, v63
	ds_write2_b32 v1, v4, v0 offset0:36 offset1:141
	s_waitcnt vmcnt(19)
	v_lshrrev_b32_e32 v0, 16, v19
	v_mul_f16_sdwa v1, v15, v0 dst_sel:DWORD dst_unused:UNUSED_PAD src0_sel:WORD_1 src1_sel:DWORD
	v_mul_f16_sdwa v2, v15, v19 dst_sel:DWORD dst_unused:UNUSED_PAD src0_sel:WORD_1 src1_sel:DWORD
	v_fma_f16 v1, v15, v19, v1
	v_fma_f16 v0, v15, v0, -v2
	v_pack_b32_f16 v0, v1, v0
	s_waitcnt vmcnt(18)
	v_lshrrev_b32_e32 v1, 16, v6
	v_mul_f16_sdwa v2, v16, v1 dst_sel:DWORD dst_unused:UNUSED_PAD src0_sel:WORD_1 src1_sel:DWORD
	v_mul_f16_sdwa v3, v16, v6 dst_sel:DWORD dst_unused:UNUSED_PAD src0_sel:WORD_1 src1_sel:DWORD
	v_fma_f16 v2, v16, v6, v2
	v_fma_f16 v1, v16, v1, -v3
	v_pack_b32_f16 v1, v2, v1
	v_add_u32_e32 v2, 0x800, v63
	ds_write2_b32 v2, v0, v1 offset0:118 offset1:223
	s_waitcnt vmcnt(17)
	v_lshrrev_b32_e32 v0, 16, v7
	s_waitcnt vmcnt(15)
	v_mul_f16_sdwa v1, v9, v0 dst_sel:DWORD dst_unused:UNUSED_PAD src0_sel:WORD_1 src1_sel:DWORD
	v_mul_f16_sdwa v2, v9, v7 dst_sel:DWORD dst_unused:UNUSED_PAD src0_sel:WORD_1 src1_sel:DWORD
	v_fma_f16 v1, v9, v7, v1
	v_fma_f16 v0, v9, v0, -v2
	v_pack_b32_f16 v0, v1, v0
	v_lshrrev_b32_e32 v1, 16, v8
	s_waitcnt vmcnt(14)
	v_mul_f16_sdwa v2, v10, v1 dst_sel:DWORD dst_unused:UNUSED_PAD src0_sel:WORD_1 src1_sel:DWORD
	v_mul_f16_sdwa v3, v10, v8 dst_sel:DWORD dst_unused:UNUSED_PAD src0_sel:WORD_1 src1_sel:DWORD
	v_fma_f16 v2, v10, v8, v2
	v_fma_f16 v1, v10, v1, -v3
	v_pack_b32_f16 v1, v2, v1
	v_add_u32_e32 v2, 0xc00, v63
	ds_write2_b32 v2, v0, v1 offset0:72 offset1:177
	s_waitcnt vmcnt(13)
	v_lshrrev_b32_e32 v0, 16, v11
	s_waitcnt vmcnt(12)
	v_mul_f16_sdwa v1, v12, v0 dst_sel:DWORD dst_unused:UNUSED_PAD src0_sel:WORD_1 src1_sel:DWORD
	v_mul_f16_sdwa v2, v12, v11 dst_sel:DWORD dst_unused:UNUSED_PAD src0_sel:WORD_1 src1_sel:DWORD
	v_fma_f16 v1, v12, v11, v1
	v_fma_f16 v0, v12, v0, -v2
	v_pack_b32_f16 v0, v1, v0
	s_waitcnt vmcnt(11)
	v_lshrrev_b32_e32 v1, 16, v13
	s_waitcnt vmcnt(10)
	v_mul_f16_sdwa v2, v17, v1 dst_sel:DWORD dst_unused:UNUSED_PAD src0_sel:WORD_1 src1_sel:DWORD
	v_mul_f16_sdwa v3, v17, v13 dst_sel:DWORD dst_unused:UNUSED_PAD src0_sel:WORD_1 src1_sel:DWORD
	v_fma_f16 v2, v17, v13, v2
	v_fma_f16 v1, v17, v1, -v3
	v_pack_b32_f16 v1, v2, v1
	v_add_u32_e32 v2, 0x1000, v63
	ds_write2_b32 v2, v0, v1 offset0:26 offset1:131
	s_waitcnt vmcnt(9)
	v_lshrrev_b32_e32 v0, 16, v20
	s_waitcnt vmcnt(8)
	v_mul_f16_sdwa v1, v21, v0 dst_sel:DWORD dst_unused:UNUSED_PAD src0_sel:WORD_1 src1_sel:DWORD
	v_mul_f16_sdwa v2, v21, v20 dst_sel:DWORD dst_unused:UNUSED_PAD src0_sel:WORD_1 src1_sel:DWORD
	v_fma_f16 v1, v21, v20, v1
	v_fma_f16 v0, v21, v0, -v2
	v_pack_b32_f16 v0, v1, v0
	s_waitcnt vmcnt(7)
	;; [unrolled: 18-line block ×3, first 2 shown]
	v_lshrrev_b32_e32 v1, 16, v27
	s_waitcnt vmcnt(2)
	v_mul_f16_sdwa v2, v28, v1 dst_sel:DWORD dst_unused:UNUSED_PAD src0_sel:WORD_1 src1_sel:DWORD
	v_mul_f16_sdwa v3, v28, v27 dst_sel:DWORD dst_unused:UNUSED_PAD src0_sel:WORD_1 src1_sel:DWORD
	v_fma_f16 v2, v28, v27, v2
	v_fma_f16 v1, v28, v1, -v3
	v_pack_b32_f16 v1, v2, v1
	v_add_u32_e32 v2, 0x1600, v63
	ds_write2_b32 v2, v0, v1 offset0:62 offset1:167
	s_waitcnt vmcnt(1)
	v_lshrrev_b32_e32 v0, 16, v5
	s_waitcnt vmcnt(0)
	v_mul_f16_sdwa v1, v29, v0 dst_sel:DWORD dst_unused:UNUSED_PAD src0_sel:WORD_1 src1_sel:DWORD
	v_mul_f16_sdwa v2, v29, v5 dst_sel:DWORD dst_unused:UNUSED_PAD src0_sel:WORD_1 src1_sel:DWORD
	v_fma_f16 v1, v29, v5, v1
	v_fma_f16 v0, v29, v0, -v2
	v_pack_b32_f16 v0, v1, v0
	ds_write_b32 v63, v0 offset:6720
.LBB0_3:
	s_or_b64 exec, exec, s[8:9]
	s_load_dwordx2 s[2:3], s[4:5], 0x20
	s_load_dwordx2 s[14:15], s[4:5], 0x8
	v_mov_b32_e32 v0, 0
	s_waitcnt lgkmcnt(0)
	s_barrier
	s_waitcnt lgkmcnt(0)
                                        ; implicit-def: $vgpr16
                                        ; implicit-def: $vgpr11
                                        ; implicit-def: $vgpr9
                                        ; implicit-def: $vgpr7
                                        ; implicit-def: $vgpr5
                                        ; implicit-def: $vgpr3
                                        ; implicit-def: $vgpr13
                                        ; implicit-def: $vgpr15
                                        ; implicit-def: $vgpr48
	s_and_saveexec_b64 s[4:5], s[0:1]
	s_cbranch_execz .LBB0_5
; %bb.4:
	v_add_u32_e32 v2, 0x200, v63
	ds_read2_b32 v[14:15], v2 offset0:82 offset1:187
	v_add_u32_e32 v2, 0x600, v63
	ds_read2_b32 v[12:13], v2 offset0:36 offset1:141
	v_add_u32_e32 v2, 0x800, v63
	v_add_u32_e32 v4, 0xc00, v63
	;; [unrolled: 1-line block ×5, first 2 shown]
	ds_read2_b32 v[0:1], v63 offset1:105
	ds_read2_b32 v[2:3], v2 offset0:118 offset1:223
	ds_read2_b32 v[4:5], v4 offset0:72 offset1:177
	;; [unrolled: 1-line block ×5, first 2 shown]
	ds_read_b32 v16, v63 offset:6720
	s_waitcnt lgkmcnt(8)
	v_alignbit_b32 v48, v14, v14, 16
.LBB0_5:
	s_or_b64 exec, exec, s[4:5]
	s_waitcnt lgkmcnt(0)
	v_pk_add_f16 v14, v1, v16 neg_lo:[0,1] neg_hi:[0,1]
	s_mov_b32 s26, 0xb5c8
	v_pk_add_f16 v18, v16, v1
	s_movk_i32 s8, 0x3b76
	v_mul_f16_sdwa v39, v14, s26 dst_sel:DWORD dst_unused:UNUSED_PAD src0_sel:WORD_1 src1_sel:DWORD
	v_fma_f16 v17, v18, s8, v39
	v_lshrrev_b32_e32 v31, 16, v18
	s_movk_i32 s9, 0x39e9
	v_mul_f16_e32 v47, 0xb964, v14
	v_add_f16_e32 v19, v17, v0
	v_fma_f16 v17, v31, s9, -v47
	s_mov_b32 s29, 0xb964
	v_add_f16_sdwa v21, v17, v0 dst_sel:DWORD dst_unused:UNUSED_PAD src0_sel:DWORD src1_sel:WORD_1
	v_pk_add_f16 v17, v11, v48 op_sel:[1,0] op_sel_hi:[0,1]
	v_pk_add_f16 v20, v48, v11 op_sel:[1,0] op_sel_hi:[0,1] neg_lo:[0,1] neg_hi:[0,1]
	v_lshrrev_b32_e32 v28, 16, v17
	v_mul_f16_sdwa v41, v20, s29 dst_sel:DWORD dst_unused:UNUSED_PAD src0_sel:WORD_1 src1_sel:DWORD
	v_fma_f16 v22, v28, s9, v41
	s_movk_i32 s10, 0x2de8
	v_mul_f16_e32 v50, 0xbbf7, v20
	v_add_f16_e32 v23, v22, v19
	v_fma_f16 v19, v17, s10, -v50
	v_add_f16_e32 v21, v19, v21
	v_pk_add_f16 v19, v15, v10 neg_lo:[0,1] neg_hi:[0,1]
	s_mov_b32 s28, 0xbb29
	v_pk_add_f16 v22, v10, v15
	s_movk_i32 s11, 0x3722
	v_mul_f16_sdwa v44, v19, s28 dst_sel:DWORD dst_unused:UNUSED_PAD src0_sel:WORD_1 src1_sel:DWORD
	v_fma_f16 v25, v22, s11, v44
	v_lshrrev_b32_e32 v35, 16, v22
	s_mov_b32 s16, 0xb8d2
	v_mul_f16_e32 v51, 0xba62, v19
	v_add_f16_e32 v23, v25, v23
	v_fma_f16 v25, v35, s16, -v51
	s_mov_b32 s27, 0xbbf7
	v_add_f16_e32 v26, v25, v21
	v_pk_add_f16 v21, v12, v9 neg_lo:[0,1] neg_hi:[0,1]
	v_pk_add_f16 v25, v9, v12
	v_mul_f16_sdwa v46, v21, s27 dst_sel:DWORD dst_unused:UNUSED_PAD src0_sel:WORD_1 src1_sel:DWORD
	v_fma_f16 v27, v25, s10, v46
	v_lshrrev_b32_e32 v36, 16, v25
	s_mov_b32 s20, 0xbbdd
	v_mul_f16_e32 v53, 0xb1e1, v21
	v_add_f16_e32 v29, v27, v23
	v_fma_f16 v23, v36, s20, -v53
	v_add_f16_e32 v26, v23, v26
	v_pk_add_f16 v23, v13, v8 neg_lo:[0,1] neg_hi:[0,1]
	s_mov_b32 s17, 0xbbb2
	v_pk_add_f16 v27, v8, v13
	s_mov_b32 s18, 0xb461
	v_mul_f16_sdwa v49, v23, s17 dst_sel:DWORD dst_unused:UNUSED_PAD src0_sel:WORD_1 src1_sel:DWORD
	v_fma_f16 v30, v27, s18, v49
	s_mov_b32 s21, 0xbacd
	v_lshrrev_b32_e32 v37, 16, v27
	v_mul_f16_e32 v55, 0x3836, v23
	v_add_f16_e32 v29, v30, v29
	v_fma_f16 v30, v37, s21, -v55
	v_add_f16_e32 v32, v30, v26
	s_mov_b32 s19, 0xba62
	v_pk_add_f16 v26, v2, v7 neg_lo:[0,1] neg_hi:[0,1]
	v_pk_add_f16 v30, v7, v2
	v_mul_f16_sdwa v52, v26, s19 dst_sel:DWORD dst_unused:UNUSED_PAD src0_sel:WORD_1 src1_sel:DWORD
	v_fma_f16 v33, v30, s16, v52
	v_lshrrev_b32_e32 v38, 16, v30
	v_mul_f16_e32 v56, 0x3bb2, v26
	v_add_f16_e32 v34, v33, v29
	v_fma_f16 v29, v38, s18, -v56
	v_add_f16_e32 v32, v29, v32
	s_mov_b32 s22, 0xb836
	v_pk_add_f16 v29, v3, v6 neg_lo:[0,1] neg_hi:[0,1]
	v_pk_add_f16 v33, v6, v3
	v_mul_f16_sdwa v54, v29, s22 dst_sel:DWORD dst_unused:UNUSED_PAD src0_sel:WORD_1 src1_sel:DWORD
	v_fma_f16 v40, v33, s21, v54
	v_add_f16_e32 v42, v40, v34
	v_lshrrev_b32_e32 v40, 16, v33
	v_mul_f16_e32 v57, 0x3b29, v29
	v_fma_f16 v34, v40, s11, -v57
	v_add_f16_e32 v43, v34, v32
	v_pk_add_f16 v34, v5, v4
	v_pk_add_f16 v32, v4, v5 neg_lo:[0,1] neg_hi:[0,1]
	v_lshrrev_b32_e32 v45, 16, v34
	v_mul_f16_e32 v58, 0x35c8, v32
	v_fma_f16 v59, v45, s8, -v58
	s_mov_b32 s4, 0x3b7639e9
	v_add_f16_e32 v61, v59, v43
	s_mov_b32 s5, 0xb964b5c8
	v_pk_mul_f16 v43, v18, s4
	v_pk_fma_f16 v59, v14, s5, v43 op_sel:[0,0,1] op_sel_hi:[1,1,0] neg_lo:[1,0,0] neg_hi:[1,0,0]
	v_pk_fma_f16 v60, v14, s5, v43 op_sel:[0,0,1] op_sel_hi:[1,1,0]
	s_mov_b32 s5, 0xbbf7b964
	s_mov_b32 s4, 0x2de839e9
	v_pk_mul_f16 v43, v20, s5
	v_pk_fma_f16 v66, v17, s4, v43 neg_lo:[0,0,1] neg_hi:[0,0,1]
	v_pk_fma_f16 v67, v17, s4, v43
	s_mov_b32 s4, 0x3722b8d2
	s_mov_b32 s5, 0xba62bb29
	v_pk_mul_f16 v43, v22, s4
	s_mov_b32 s4, 0x2de8bbdd
	v_pk_fma_f16 v69, v19, s5, v43 op_sel:[0,0,1] op_sel_hi:[1,1,0] neg_lo:[1,0,0] neg_hi:[1,0,0]
	v_pk_fma_f16 v70, v19, s5, v43 op_sel:[0,0,1] op_sel_hi:[1,1,0]
	s_mov_b32 s5, 0xb1e1bbf7
	v_pk_mul_f16 v43, v25, s4
	s_mov_b32 s4, 0xb461bacd
	v_pk_fma_f16 v71, v21, s5, v43 op_sel:[0,0,1] op_sel_hi:[1,1,0] neg_lo:[1,0,0] neg_hi:[1,0,0]
	v_pk_fma_f16 v72, v21, s5, v43 op_sel:[0,0,1] op_sel_hi:[1,1,0]
	s_mov_b32 s5, 0x3836bbb2
	v_pk_mul_f16 v43, v27, s4
	s_mov_b32 s4, 0xb8d2b461
	s_mov_b32 s23, 0xb1e1
	v_pk_fma_f16 v73, v23, s5, v43 op_sel:[0,0,1] op_sel_hi:[1,1,0] neg_lo:[1,0,0] neg_hi:[1,0,0]
	v_pk_fma_f16 v74, v23, s5, v43 op_sel:[0,0,1] op_sel_hi:[1,1,0]
	s_mov_b32 s5, 0x3bb2ba62
	v_pk_mul_f16 v43, v30, s4
	s_mov_b32 s4, 0xbacd3722
	v_pk_fma_f16 v75, v26, s5, v43 op_sel:[0,0,1] op_sel_hi:[1,1,0] neg_lo:[1,0,0] neg_hi:[1,0,0]
	v_pk_fma_f16 v76, v26, s5, v43 op_sel:[0,0,1] op_sel_hi:[1,1,0]
	s_mov_b32 s5, 0x3b29b836
	v_pk_mul_f16 v43, v33, s4
	v_mul_f16_sdwa v68, v32, s23 dst_sel:DWORD dst_unused:UNUSED_PAD src0_sel:WORD_1 src1_sel:DWORD
	v_pk_fma_f16 v77, v29, s5, v43 op_sel:[0,0,1] op_sel_hi:[1,1,0] neg_lo:[1,0,0] neg_hi:[1,0,0]
	v_pk_fma_f16 v78, v29, s5, v43 op_sel:[0,0,1] op_sel_hi:[1,1,0]
	v_fma_f16 v43, v34, s20, v68
	v_add_f16_e32 v43, v43, v42
	v_add_f16_sdwa v42, v59, v0 dst_sel:DWORD dst_unused:UNUSED_PAD src0_sel:DWORD src1_sel:WORD_1
	v_add_f16_e32 v42, v66, v42
	v_add_f16_e32 v42, v69, v42
	;; [unrolled: 1-line block ×3, first 2 shown]
	s_mov_b32 s4, 0xbbdd3b76
	v_add_f16_e32 v42, v73, v42
	s_mov_b32 s5, 0x35c8b1e1
	v_add_f16_e32 v42, v75, v42
	v_pk_mul_f16 v65, v34, s4
	v_add_f16_e32 v42, v77, v42
	v_pk_fma_f16 v79, v32, s5, v65 op_sel:[0,0,1] op_sel_hi:[1,1,0] neg_lo:[1,0,0] neg_hi:[1,0,0]
	v_add_f16_e32 v62, v79, v42
	v_add_f16_sdwa v42, v60, v0 dst_sel:DWORD dst_unused:UNUSED_PAD src0_sel:WORD_1 src1_sel:DWORD
	v_add_f16_sdwa v42, v67, v42 dst_sel:DWORD dst_unused:UNUSED_PAD src0_sel:WORD_1 src1_sel:DWORD
	;; [unrolled: 1-line block ×6, first 2 shown]
	v_pk_fma_f16 v80, v32, s5, v65 op_sel:[0,0,1] op_sel_hi:[1,1,0]
	v_add_f16_sdwa v42, v78, v42 dst_sel:DWORD dst_unused:UNUSED_PAD src0_sel:WORD_1 src1_sel:DWORD
	s_movk_i32 s31, 0x3836
	s_movk_i32 s30, 0x3bb2
	;; [unrolled: 1-line block ×4, first 2 shown]
	v_add_f16_sdwa v42, v80, v42 dst_sel:DWORD dst_unused:UNUSED_PAD src0_sel:WORD_1 src1_sel:DWORD
	v_mul_lo_u16_e32 v24, 17, v64
	s_barrier
	s_and_saveexec_b64 s[4:5], s[0:1]
	s_cbranch_execz .LBB0_7
; %bb.6:
	v_alignbit_b32 v81, v48, v48, 16
	v_alignbit_b32 v48, v0, v0, 16
	v_pk_add_f16 v1, v1, v48 op_sel:[0,1] op_sel_hi:[1,0]
	v_pk_add_f16 v1, v81, v1
	v_pk_add_f16 v1, v15, v1
	;; [unrolled: 1-line block ×4, first 2 shown]
	v_mul_f16_e32 v13, 0x3722, v31
	v_fma_f16 v1, v14, s24, v13
	s_movk_i32 s35, 0x3a62
	v_mul_f16_e32 v15, 0xb8d2, v17
	v_add_f16_sdwa v1, v1, v0 dst_sel:DWORD dst_unused:UNUSED_PAD src0_sel:DWORD src1_sel:WORD_1
	v_fma_f16 v81, v20, s35, v15
	v_add_f16_e32 v1, v81, v1
	v_mul_f16_e32 v81, 0xbbdd, v35
	v_fma_f16 v82, v19, s23, v81
	v_add_f16_e32 v1, v82, v1
	v_mul_f16_e32 v82, 0xb461, v36
	;; [unrolled: 3-line block ×4, first 2 shown]
	v_fma_f16 v85, v26, s25, v84
	v_add_f16_e32 v1, v85, v1
	s_movk_i32 s33, 0x3bf7
	v_mul_f16_e32 v85, 0x2de8, v40
	v_fma_f16 v86, v29, s33, v85
	v_add_f16_e32 v1, v86, v1
	v_mul_f16_e32 v86, 0xbacd, v45
	v_fma_f16 v87, v32, s31, v86
	v_add_f16_e32 v1, v87, v1
	v_mul_f16_sdwa v87, v14, s28 dst_sel:DWORD dst_unused:UNUSED_PAD src0_sel:WORD_1 src1_sel:DWORD
	v_fma_f16 v88, v18, s11, v87
	v_mul_f16_sdwa v89, v20, s19 dst_sel:DWORD dst_unused:UNUSED_PAD src0_sel:WORD_1 src1_sel:DWORD
	v_add_f16_e32 v88, v88, v0
	v_fma_f16 v90, v28, s16, v89
	s_movk_i32 s36, 0x31e1
	v_add_f16_e32 v88, v90, v88
	v_mul_f16_sdwa v90, v19, s36 dst_sel:DWORD dst_unused:UNUSED_PAD src0_sel:WORD_1 src1_sel:DWORD
	v_fma_f16 v91, v22, s20, v90
	v_add_f16_e32 v88, v91, v88
	v_mul_f16_sdwa v91, v21, s30 dst_sel:DWORD dst_unused:UNUSED_PAD src0_sel:WORD_1 src1_sel:DWORD
	v_fma_f16 v92, v25, s18, v91
	s_movk_i32 s34, 0x3964
	v_add_f16_e32 v88, v92, v88
	v_mul_f16_sdwa v92, v23, s34 dst_sel:DWORD dst_unused:UNUSED_PAD src0_sel:WORD_1 src1_sel:DWORD
	v_fma_f16 v93, v27, s9, v92
	v_add_f16_e32 v88, v93, v88
	v_mul_f16_sdwa v93, v26, s26 dst_sel:DWORD dst_unused:UNUSED_PAD src0_sel:WORD_1 src1_sel:DWORD
	v_fma_f16 v94, v30, s8, v93
	;; [unrolled: 3-line block ×4, first 2 shown]
	v_add_f16_e32 v88, v96, v88
	v_mul_f16_e32 v96, 0xb8d2, v31
	v_fma_f16 v97, v14, s35, v96
	v_mul_f16_e32 v98, 0xb461, v17
	v_add_f16_sdwa v97, v97, v0 dst_sel:DWORD dst_unused:UNUSED_PAD src0_sel:DWORD src1_sel:WORD_1
	v_fma_f16 v99, v20, s17, v98
	v_add_f16_e32 v97, v99, v97
	v_mul_f16_e32 v99, 0x3b76, v35
	v_fma_f16 v100, v19, s25, v99
	v_add_f16_e32 v97, v100, v97
	v_mul_f16_e32 v100, 0xbacd, v36
	;; [unrolled: 3-line block ×6, first 2 shown]
	v_fma_f16 v105, v32, s28, v104
	v_add_f16_e32 v97, v105, v97
	v_mul_f16_sdwa v105, v14, s19 dst_sel:DWORD dst_unused:UNUSED_PAD src0_sel:WORD_1 src1_sel:DWORD
	v_fma_f16 v106, v18, s16, v105
	v_mul_f16_sdwa v107, v20, s30 dst_sel:DWORD dst_unused:UNUSED_PAD src0_sel:WORD_1 src1_sel:DWORD
	v_add_f16_e32 v106, v106, v0
	v_fma_f16 v108, v28, s18, v107
	v_add_f16_e32 v106, v108, v106
	v_mul_f16_sdwa v108, v19, s26 dst_sel:DWORD dst_unused:UNUSED_PAD src0_sel:WORD_1 src1_sel:DWORD
	v_fma_f16 v109, v22, s8, v108
	v_add_f16_e32 v106, v109, v106
	v_mul_f16_sdwa v109, v21, s22 dst_sel:DWORD dst_unused:UNUSED_PAD src0_sel:WORD_1 src1_sel:DWORD
	;; [unrolled: 3-line block ×3, first 2 shown]
	v_fma_f16 v111, v27, s10, v110
	v_fma_f16 v96, v14, s19, v96
	v_add_f16_e32 v106, v111, v106
	v_mul_f16_sdwa v111, v26, s29 dst_sel:DWORD dst_unused:UNUSED_PAD src0_sel:WORD_1 src1_sel:DWORD
	v_add_f16_sdwa v96, v96, v0 dst_sel:DWORD dst_unused:UNUSED_PAD src0_sel:DWORD src1_sel:WORD_1
	v_fma_f16 v98, v20, s30, v98
	v_fma_f16 v112, v30, s9, v111
	v_add_f16_e32 v96, v98, v96
	v_fma_f16 v98, v19, s26, v99
	v_add_f16_e32 v106, v112, v106
	v_mul_f16_sdwa v112, v29, s23 dst_sel:DWORD dst_unused:UNUSED_PAD src0_sel:WORD_1 src1_sel:DWORD
	v_add_f16_e32 v96, v98, v96
	v_fma_f16 v98, v21, s22, v100
	v_fma_f16 v113, v33, s20, v112
	v_add_f16_e32 v96, v98, v96
	v_fma_f16 v98, v23, s33, v101
	v_add_f16_e32 v106, v113, v106
	v_mul_f16_sdwa v113, v32, s24 dst_sel:DWORD dst_unused:UNUSED_PAD src0_sel:WORD_1 src1_sel:DWORD
	v_add_f16_e32 v96, v98, v96
	v_fma_f16 v98, v26, s29, v102
	v_fma_f16 v114, v34, s11, v113
	v_add_f16_e32 v96, v98, v96
	v_fma_f16 v98, v29, s23, v103
	v_add_f16_e32 v106, v114, v106
	v_mul_f16_e32 v114, 0xb836, v14
	v_add_f16_e32 v96, v98, v96
	v_fma_f16 v98, v32, s24, v104
	v_fma_f16 v115, v31, s21, v114
	v_mul_f16_e32 v116, 0x3b29, v20
	v_add_f16_e32 v96, v98, v96
	v_fma_f16 v98, v18, s16, -v105
	v_add_f16_sdwa v115, v115, v0 dst_sel:DWORD dst_unused:UNUSED_PAD src0_sel:DWORD src1_sel:WORD_1
	v_fma_f16 v117, v17, s11, v116
	v_add_f16_e32 v98, v98, v0
	v_fma_f16 v99, v28, s18, -v107
	v_add_f16_e32 v115, v117, v115
	v_mul_f16_e32 v117, 0xbbf7, v19
	v_add_f16_e32 v98, v99, v98
	v_fma_f16 v99, v22, s8, -v108
	v_fma_f16 v118, v35, s10, v117
	v_add_f16_e32 v98, v99, v98
	v_fma_f16 v99, v25, s21, -v109
	v_add_f16_e32 v115, v118, v115
	v_mul_f16_e32 v118, 0x3a62, v21
	v_add_f16_e32 v98, v99, v98
	v_fma_f16 v99, v27, s10, -v110
	v_fma_f16 v13, v14, s28, v13
	v_fma_f16 v119, v36, s16, v118
	v_add_f16_e32 v98, v99, v98
	v_fma_f16 v99, v30, s9, -v111
	v_add_f16_sdwa v13, v13, v0 dst_sel:DWORD dst_unused:UNUSED_PAD src0_sel:DWORD src1_sel:WORD_1
	v_fma_f16 v15, v20, s19, v15
	v_add_f16_e32 v115, v119, v115
	v_mul_f16_e32 v119, 0xb5c8, v23
	v_add_f16_e32 v98, v99, v98
	v_fma_f16 v99, v33, s20, -v112
	v_add_f16_e32 v13, v15, v13
	v_fma_f16 v15, v19, s36, v81
	v_fma_f16 v120, v37, s8, v119
	v_add_f16_e32 v98, v99, v98
	v_fma_f16 v99, v34, s11, -v113
	v_add_f16_e32 v13, v15, v13
	v_fma_f16 v15, v21, s30, v82
	v_add_f16_e32 v115, v120, v115
	v_mul_f16_e32 v120, 0xb1e1, v26
	v_add_f16_e32 v98, v99, v98
	v_mul_f16_e32 v99, 0xbbb2, v14
	v_add_f16_e32 v13, v15, v13
	v_fma_f16 v15, v23, s34, v83
	v_fma_f16 v121, v38, s20, v120
	;; [unrolled: 1-line block ×3, first 2 shown]
	v_mul_f16_e32 v101, 0x3836, v20
	v_add_f16_e32 v13, v15, v13
	v_fma_f16 v15, v26, s26, v84
	v_add_f16_e32 v115, v121, v115
	v_mul_f16_e32 v121, 0x3964, v29
	v_add_f16_sdwa v100, v100, v0 dst_sel:DWORD dst_unused:UNUSED_PAD src0_sel:DWORD src1_sel:WORD_1
	v_fma_f16 v102, v17, s21, v101
	v_add_f16_e32 v13, v15, v13
	v_fma_f16 v15, v29, s27, v85
	v_fma_f16 v122, v40, s9, v121
	v_add_f16_e32 v100, v102, v100
	v_mul_f16_e32 v102, 0x3964, v19
	v_add_f16_e32 v13, v15, v13
	v_fma_f16 v15, v32, s22, v86
	v_add_f16_e32 v115, v122, v115
	v_mul_f16_e32 v122, 0xbbb2, v32
	v_fma_f16 v103, v35, s9, v102
	v_add_f16_e32 v13, v15, v13
	v_fma_f16 v15, v18, s11, -v87
	v_fma_f16 v123, v45, s18, v122
	v_add_f16_e32 v100, v103, v100
	v_mul_f16_e32 v103, 0xbb29, v21
	v_add_f16_e32 v15, v15, v0
	v_fma_f16 v81, v28, s16, -v89
	v_add_f16_e32 v115, v123, v115
	v_mul_f16_sdwa v123, v14, s22 dst_sel:DWORD dst_unused:UNUSED_PAD src0_sel:WORD_1 src1_sel:DWORD
	v_fma_f16 v104, v36, s11, v103
	v_add_f16_e32 v15, v81, v15
	v_fma_f16 v81, v22, s20, -v90
	v_fma_f16 v124, v18, s21, -v123
	v_mul_f16_sdwa v125, v20, s24 dst_sel:DWORD dst_unused:UNUSED_PAD src0_sel:WORD_1 src1_sel:DWORD
	v_add_f16_e32 v100, v104, v100
	v_mul_f16_e32 v104, 0xb1e1, v23
	v_add_f16_e32 v15, v81, v15
	v_fma_f16 v81, v25, s18, -v91
	v_add_f16_e32 v124, v124, v0
	v_fma_f16 v126, v28, s11, -v125
	v_fma_f16 v105, v37, s20, v104
	v_add_f16_e32 v15, v81, v15
	v_fma_f16 v81, v27, s9, -v92
	v_add_f16_e32 v124, v126, v124
	v_mul_f16_sdwa v126, v19, s27 dst_sel:DWORD dst_unused:UNUSED_PAD src0_sel:WORD_1 src1_sel:DWORD
	v_add_f16_e32 v100, v105, v100
	v_mul_f16_e32 v105, 0x3bf7, v26
	v_add_f16_e32 v15, v81, v15
	v_fma_f16 v81, v30, s8, -v93
	v_fma_f16 v127, v22, s10, -v126
	v_fma_f16 v107, v38, s10, v105
	v_add_f16_e32 v15, v81, v15
	v_fma_f16 v81, v33, s10, -v94
	v_add_f16_e32 v124, v127, v124
	v_mul_f16_sdwa v127, v21, s35 dst_sel:DWORD dst_unused:UNUSED_PAD src0_sel:WORD_1 src1_sel:DWORD
	v_add_f16_e32 v100, v107, v100
	v_mul_f16_e32 v107, 0xb5c8, v29
	v_add_f16_e32 v15, v81, v15
	v_fma_f16 v81, v34, s21, -v95
	v_fma_f16 v128, v25, s16, -v127
	v_fma_f16 v108, v40, s8, v107
	v_add_f16_e32 v15, v81, v15
	v_mul_f16_e32 v81, 0x39e9, v31
	v_add_f16_e32 v124, v128, v124
	v_mul_f16_sdwa v128, v23, s26 dst_sel:DWORD dst_unused:UNUSED_PAD src0_sel:WORD_1 src1_sel:DWORD
	v_add_f16_e32 v100, v108, v100
	v_mul_f16_e32 v108, 0xba62, v32
	v_add_f16_e32 v47, v47, v81
	v_mul_f16_e32 v81, 0x2de8, v17
	v_fma_f16 v129, v27, s8, -v128
	v_fma_f16 v109, v45, s16, v108
	v_add_f16_e32 v50, v50, v81
	v_add_f16_sdwa v47, v47, v0 dst_sel:DWORD dst_unused:UNUSED_PAD src0_sel:DWORD src1_sel:WORD_1
	v_add_f16_e32 v124, v129, v124
	v_mul_f16_sdwa v129, v26, s23 dst_sel:DWORD dst_unused:UNUSED_PAD src0_sel:WORD_1 src1_sel:DWORD
	v_add_f16_e32 v100, v109, v100
	v_mul_f16_sdwa v109, v14, s17 dst_sel:DWORD dst_unused:UNUSED_PAD src0_sel:WORD_1 src1_sel:DWORD
	v_add_f16_e32 v47, v50, v47
	v_mul_f16_e32 v50, 0xb8d2, v35
	v_fma_f16 v130, v30, s20, -v129
	v_fma_f16 v110, v18, s18, -v109
	v_mul_f16_sdwa v111, v20, s31 dst_sel:DWORD dst_unused:UNUSED_PAD src0_sel:WORD_1 src1_sel:DWORD
	v_add_f16_e32 v50, v51, v50
	v_add_f16_e32 v124, v130, v124
	v_mul_f16_sdwa v130, v29, s34 dst_sel:DWORD dst_unused:UNUSED_PAD src0_sel:WORD_1 src1_sel:DWORD
	v_add_f16_e32 v110, v110, v0
	v_fma_f16 v112, v28, s21, -v111
	v_add_f16_e32 v47, v50, v47
	v_mul_f16_e32 v50, 0xbbdd, v36
	v_fma_f16 v131, v33, s9, -v130
	v_add_f16_e32 v110, v112, v110
	v_mul_f16_sdwa v112, v19, s34 dst_sel:DWORD dst_unused:UNUSED_PAD src0_sel:WORD_1 src1_sel:DWORD
	v_add_f16_e32 v50, v53, v50
	v_add_f16_e32 v124, v131, v124
	v_mul_f16_sdwa v131, v32, s17 dst_sel:DWORD dst_unused:UNUSED_PAD src0_sel:WORD_1 src1_sel:DWORD
	v_fma_f16 v113, v22, s9, -v112
	v_add_f16_e32 v47, v50, v47
	v_mul_f16_e32 v50, 0xbacd, v37
	v_fma_f16 v132, v34, s18, -v131
	v_add_f16_e32 v110, v113, v110
	v_mul_f16_sdwa v113, v21, s28 dst_sel:DWORD dst_unused:UNUSED_PAD src0_sel:WORD_1 src1_sel:DWORD
	v_add_f16_e32 v50, v55, v50
	v_add_f16_e32 v124, v132, v124
	v_fma_f16 v132, v25, s11, -v113
	v_add_f16_e32 v47, v50, v47
	v_mul_f16_e32 v50, 0xb461, v38
	v_add_f16_e32 v110, v132, v110
	v_mul_f16_sdwa v132, v23, s23 dst_sel:DWORD dst_unused:UNUSED_PAD src0_sel:WORD_1 src1_sel:DWORD
	v_add_f16_e32 v50, v56, v50
	v_fma_f16 v133, v27, s20, -v132
	v_add_f16_e32 v47, v50, v47
	v_mul_f16_e32 v50, 0x3722, v40
	v_add_f16_e32 v110, v133, v110
	v_mul_f16_sdwa v133, v26, s33 dst_sel:DWORD dst_unused:UNUSED_PAD src0_sel:WORD_1 src1_sel:DWORD
	;; [unrolled: 6-line block ×3, first 2 shown]
	v_add_f16_e32 v50, v58, v50
	s_mov_b32 s26, 0xffff
	v_add_f16_e32 v47, v50, v47
	v_bfi_b32 v50, s26, v60, v59
	v_mul_f16_e32 v60, 0x3b76, v18
	v_sub_f16_e32 v39, v60, v39
	v_mul_f16_e32 v60, 0x39e9, v28
	v_sub_f16_e32 v41, v60, v41
	v_add_f16_e32 v39, v39, v0
	v_add_f16_e32 v39, v41, v39
	v_mul_f16_e32 v41, 0x3722, v22
	v_sub_f16_e32 v41, v41, v44
	v_add_f16_e32 v39, v41, v39
	v_mul_f16_e32 v41, 0x2de8, v25
	v_sub_f16_e32 v41, v41, v46
	;; [unrolled: 3-line block ×6, first 2 shown]
	v_add_f16_e32 v39, v41, v39
	v_fma_f16 v41, v31, s21, -v114
	v_add_f16_sdwa v41, v41, v0 dst_sel:DWORD dst_unused:UNUSED_PAD src0_sel:DWORD src1_sel:WORD_1
	v_fma_f16 v44, v17, s11, -v116
	v_add_f16_e32 v41, v44, v41
	v_fma_f16 v44, v35, s10, -v117
	v_add_f16_e32 v41, v44, v41
	;; [unrolled: 2-line block ×7, first 2 shown]
	v_fma_f16 v44, v18, s21, v123
	v_add_f16_e32 v44, v44, v0
	v_fma_f16 v46, v28, s11, v125
	v_add_f16_e32 v44, v46, v44
	;; [unrolled: 2-line block ×5, first 2 shown]
	v_fma_f16 v46, v30, s20, v129
	v_fma_f16 v135, v33, s8, -v134
	v_add_f16_e32 v44, v46, v44
	v_fma_f16 v46, v33, s9, v130
	v_add_f16_e32 v110, v135, v110
	v_mul_f16_sdwa v135, v32, s19 dst_sel:DWORD dst_unused:UNUSED_PAD src0_sel:WORD_1 src1_sel:DWORD
	v_add_f16_e32 v44, v46, v44
	v_fma_f16 v46, v34, s18, v131
	v_fma_f16 v136, v34, s16, -v135
	v_add_f16_e32 v44, v46, v44
	v_fma_f16 v46, v31, s18, -v99
	v_add_f16_e32 v110, v136, v110
	v_mul_f16_e32 v136, 0xbbf7, v14
	v_add_f16_sdwa v46, v46, v0 dst_sel:DWORD dst_unused:UNUSED_PAD src0_sel:DWORD src1_sel:WORD_1
	v_fma_f16 v49, v17, s21, -v101
	v_fma_f16 v137, v31, s10, v136
	v_mul_f16_e32 v138, 0xb1e1, v20
	v_add_f16_e32 v46, v49, v46
	v_fma_f16 v49, v35, s9, -v102
	v_add_f16_sdwa v137, v137, v0 dst_sel:DWORD dst_unused:UNUSED_PAD src0_sel:DWORD src1_sel:WORD_1
	v_fma_f16 v139, v17, s20, v138
	v_add_f16_e32 v46, v49, v46
	v_fma_f16 v49, v36, s11, -v103
	v_add_f16_e32 v137, v139, v137
	v_mul_f16_e32 v139, 0x3bb2, v19
	v_add_f16_e32 v46, v49, v46
	v_fma_f16 v49, v37, s20, -v104
	v_fma_f16 v140, v35, s18, v139
	v_add_f16_e32 v46, v49, v46
	v_fma_f16 v49, v38, s10, -v105
	v_add_f16_e32 v137, v140, v137
	v_mul_f16_e32 v140, 0x35c8, v21
	v_add_f16_e32 v46, v49, v46
	v_fma_f16 v49, v40, s8, -v107
	v_fma_f16 v141, v36, s8, v140
	v_add_f16_e32 v46, v49, v46
	v_fma_f16 v49, v45, s16, -v108
	v_add_f16_e32 v137, v141, v137
	v_mul_f16_e32 v141, 0xbb29, v23
	v_add_f16_e32 v46, v49, v46
	v_fma_f16 v49, v18, s18, v109
	v_fma_f16 v142, v37, s11, v141
	v_add_f16_e32 v49, v49, v0
	v_fma_f16 v52, v28, s21, v111
	v_add_f16_e32 v137, v142, v137
	v_mul_f16_e32 v142, 0xb836, v26
	v_add_f16_e32 v49, v52, v49
	v_fma_f16 v52, v22, s9, v112
	v_fma_f16 v143, v38, s21, v142
	v_add_f16_e32 v49, v52, v49
	v_fma_f16 v52, v25, s11, v113
	;; [unrolled: 7-line block ×4, first 2 shown]
	v_fma_f16 v31, v31, s10, -v136
	v_add_f16_e32 v137, v145, v137
	v_mul_f16_sdwa v145, v14, s27 dst_sel:DWORD dst_unused:UNUSED_PAD src0_sel:WORD_1 src1_sel:DWORD
	v_add_f16_e32 v49, v52, v49
	v_add_f16_sdwa v31, v31, v0 dst_sel:DWORD dst_unused:UNUSED_PAD src0_sel:DWORD src1_sel:WORD_1
	v_fma_f16 v52, v17, s20, -v138
	v_fma_f16 v146, v18, s10, -v145
	v_mul_f16_sdwa v147, v20, s23 dst_sel:DWORD dst_unused:UNUSED_PAD src0_sel:WORD_1 src1_sel:DWORD
	v_add_f16_e32 v31, v52, v31
	v_fma_f16 v35, v35, s18, -v139
	v_add_f16_e32 v146, v146, v0
	v_fma_f16 v148, v28, s20, -v147
	;; [unrolled: 2-line block ×3, first 2 shown]
	v_add_f16_e32 v146, v148, v146
	v_mul_f16_sdwa v148, v19, s30 dst_sel:DWORD dst_unused:UNUSED_PAD src0_sel:WORD_1 src1_sel:DWORD
	v_add_f16_e32 v31, v35, v31
	v_fma_f16 v35, v37, s11, -v141
	v_fma_f16 v149, v22, s18, -v148
	v_add_f16_e32 v31, v35, v31
	v_fma_f16 v35, v38, s21, -v142
	v_add_f16_e32 v146, v149, v146
	v_mul_f16_sdwa v149, v21, s25 dst_sel:DWORD dst_unused:UNUSED_PAD src0_sel:WORD_1 src1_sel:DWORD
	v_add_f16_e32 v31, v35, v31
	v_fma_f16 v35, v40, s16, -v143
	v_fma_f16 v150, v25, s8, -v149
	v_add_f16_e32 v31, v35, v31
	v_fma_f16 v35, v45, s9, -v144
	v_pk_add_f16 v2, v2, v12
	v_add_f16_e32 v146, v150, v146
	v_mul_f16_sdwa v150, v23, s28 dst_sel:DWORD dst_unused:UNUSED_PAD src0_sel:WORD_1 src1_sel:DWORD
	v_bfi_b32 v51, s26, v67, v66
	v_add_f16_e32 v31, v35, v31
	v_fma_f16 v35, v18, s10, v145
	v_pk_add_f16 v2, v3, v2
	v_pk_add_f16 v3, v50, v48
	v_fma_f16 v151, v27, s11, -v150
	v_bfi_b32 v53, s26, v70, v69
	v_add_f16_e32 v0, v35, v0
	v_fma_f16 v28, v28, s20, v147
	v_pk_add_f16 v3, v51, v3
	v_add_f16_e32 v146, v151, v146
	v_mul_f16_sdwa v151, v26, s22 dst_sel:DWORD dst_unused:UNUSED_PAD src0_sel:WORD_1 src1_sel:DWORD
	v_bfi_b32 v55, s26, v72, v71
	v_add_f16_e32 v0, v28, v0
	v_fma_f16 v28, v22, s18, v148
	v_pk_add_f16 v3, v53, v3
	v_fma_f16 v152, v30, s21, -v151
	v_bfi_b32 v56, s26, v74, v73
	v_add_f16_e32 v0, v28, v0
	v_fma_f16 v28, v25, s8, v149
	v_pk_add_f16 v2, v4, v2
	v_pk_add_f16 v3, v55, v3
	v_add_f16_e32 v146, v152, v146
	v_mul_f16_sdwa v152, v29, s35 dst_sel:DWORD dst_unused:UNUSED_PAD src0_sel:WORD_1 src1_sel:DWORD
	v_bfi_b32 v57, s26, v76, v75
	v_add_f16_e32 v0, v28, v0
	v_fma_f16 v28, v27, s11, v150
	v_pk_add_f16 v2, v5, v2
	v_pk_add_f16 v3, v56, v3
	v_fma_f16 v153, v33, s16, -v152
	v_bfi_b32 v58, s26, v78, v77
	v_add_f16_e32 v0, v28, v0
	v_fma_f16 v28, v30, s21, v151
	v_pk_add_f16 v2, v6, v2
	v_pk_add_f16 v3, v57, v3
	v_add_f16_e32 v146, v153, v146
	v_mul_f16_sdwa v153, v32, s34 dst_sel:DWORD dst_unused:UNUSED_PAD src0_sel:WORD_1 src1_sel:DWORD
	v_bfi_b32 v59, s26, v80, v79
	v_add_f16_e32 v0, v28, v0
	v_fma_f16 v28, v33, s16, v152
	v_pk_add_f16 v2, v7, v2
	v_pk_add_f16 v3, v58, v3
	v_fma_f16 v154, v34, s9, -v153
	v_add_f16_e32 v0, v28, v0
	v_fma_f16 v28, v34, s9, v153
	v_pk_add_f16 v2, v8, v2
	v_pk_add_f16 v3, v59, v3
	v_add_f16_e32 v146, v154, v146
	v_add_f16_e32 v0, v28, v0
	v_lshlrev_b32_e32 v28, 2, v24
	v_pk_add_f16 v2, v9, v2
	v_alignbit_b32 v4, v47, v3, 16
	v_pack_b32_f16 v3, v39, v3
	v_pk_add_f16 v2, v10, v2
	ds_write2_b32 v28, v3, v4 offset0:1 offset1:2
	v_pack_b32_f16 v3, v146, v137
	v_pack_b32_f16 v4, v15, v13
	v_pk_add_f16 v2, v11, v2
	ds_write2_b32 v28, v4, v3 offset0:3 offset1:4
	v_pack_b32_f16 v3, v98, v96
	;; [unrolled: 4-line block ×3, first 2 shown]
	ds_write2_b32 v28, v2, v3 offset1:7
	v_pk_mul_f16 v2, v18, s20 op_sel_hi:[1,0]
	v_pk_fma_f16 v3, v14, s23, v2 op_sel:[0,0,1] op_sel_hi:[1,0,0] neg_lo:[1,0,0] neg_hi:[1,0,0]
	v_pk_mul_f16 v4, v20, s25 op_sel_hi:[1,0]
	v_pk_add_f16 v3, v3, v48
	v_pk_fma_f16 v5, v17, s8, v4 op_sel_hi:[1,0,1] neg_lo:[0,0,1] neg_hi:[0,0,1]
	v_pk_add_f16 v3, v5, v3
	v_pk_mul_f16 v5, v22, s21 op_sel_hi:[1,0]
	v_pk_fma_f16 v6, v19, s22, v5 op_sel:[0,0,1] op_sel_hi:[1,0,0] neg_lo:[1,0,0] neg_hi:[1,0,0]
	v_pk_add_f16 v3, v6, v3
	v_pk_mul_f16 v6, v25, s9 op_sel_hi:[1,0]
	v_pk_fma_f16 v7, v21, s34, v6 op_sel:[0,0,1] op_sel_hi:[1,0,0] neg_lo:[1,0,0] neg_hi:[1,0,0]
	v_pk_add_f16 v3, v7, v3
	v_pk_mul_f16 v7, v27, s16 op_sel_hi:[1,0]
	v_pk_fma_f16 v2, v14, s23, v2 op_sel:[0,0,1] op_sel_hi:[1,0,0]
	v_pk_fma_f16 v8, v23, s19, v7 op_sel:[0,0,1] op_sel_hi:[1,0,0] neg_lo:[1,0,0] neg_hi:[1,0,0]
	v_pk_add_f16 v2, v2, v48
	v_pk_fma_f16 v4, v17, s8, v4 op_sel_hi:[1,0,1]
	v_pk_add_f16 v3, v8, v3
	v_pk_mul_f16 v8, v30, s11 op_sel_hi:[1,0]
	v_pk_add_f16 v2, v4, v2
	v_pk_fma_f16 v4, v19, s22, v5 op_sel:[0,0,1] op_sel_hi:[1,0,0]
	v_pk_fma_f16 v9, v26, s24, v8 op_sel:[0,0,1] op_sel_hi:[1,0,0] neg_lo:[1,0,0] neg_hi:[1,0,0]
	v_pk_add_f16 v2, v4, v2
	v_pk_fma_f16 v4, v21, s34, v6 op_sel:[0,0,1] op_sel_hi:[1,0,0]
	v_pk_add_f16 v3, v9, v3
	v_pk_mul_f16 v9, v33, s18 op_sel_hi:[1,0]
	v_pk_add_f16 v2, v4, v2
	v_pk_fma_f16 v4, v23, s19, v7 op_sel:[0,0,1] op_sel_hi:[1,0,0]
	v_pk_fma_f16 v10, v29, s17, v9 op_sel:[0,0,1] op_sel_hi:[1,0,0] neg_lo:[1,0,0] neg_hi:[1,0,0]
	v_pk_add_f16 v2, v4, v2
	v_pk_fma_f16 v4, v26, s24, v8 op_sel:[0,0,1] op_sel_hi:[1,0,0]
	;; [unrolled: 7-line block ×3, first 2 shown]
	v_pk_add_f16 v3, v11, v3
	v_pk_add_f16 v2, v4, v2
	v_alignbit_b32 v4, v3, v2, 16
	v_alignbit_b32 v2, v2, v3, 16
	ds_write2_b32 v28, v2, v4 offset0:8 offset1:9
	v_pack_b32_f16 v2, v106, v97
	v_pack_b32_f16 v3, v44, v41
	ds_write2_b32 v28, v3, v2 offset0:10 offset1:11
	v_pack_b32_f16 v0, v0, v31
	v_pack_b32_f16 v2, v49, v46
	s_mov_b32 s8, 0x5040100
	ds_write2_b32 v28, v2, v0 offset0:12 offset1:13
	v_pack_b32_f16 v0, v88, v1
	v_perm_b32 v1, v61, v42, s8
	ds_write2_b32 v28, v0, v1 offset0:14 offset1:15
	v_perm_b32 v0, v62, v43, s8
	ds_write_b32 v28, v0 offset:64
.LBB0_7:
	s_or_b64 exec, exec, s[4:5]
	s_load_dwordx4 s[8:11], s[2:3], 0x0
	s_movk_i32 s3, 0xf1
	v_mul_lo_u16_sdwa v2, v64, s3 dst_sel:DWORD dst_unused:UNUSED_PAD src0_sel:BYTE_0 src1_sel:DWORD
	v_lshrrev_b16_e32 v15, 12, v2
	v_mul_lo_u16_e32 v2, 17, v15
	v_sub_u16_e32 v2, v64, v2
	v_and_b32_e32 v16, 0xff, v2
	v_lshlrev_b32_e32 v2, 3, v16
	v_add_u16_e32 v17, 0x77, v64
	s_waitcnt lgkmcnt(0)
	s_barrier
	global_load_dwordx2 v[27:28], v2, s[14:15]
	v_mul_lo_u16_sdwa v2, v17, s3 dst_sel:DWORD dst_unused:UNUSED_PAD src0_sel:BYTE_0 src1_sel:DWORD
	v_lshrrev_b16_e32 v18, 12, v2
	v_mul_lo_u16_e32 v2, 17, v18
	v_sub_u16_e32 v2, v17, v2
	s_movk_i32 s2, 0xee
	v_and_b32_e32 v19, 0xff, v2
	v_add_co_u32_e32 v0, vcc, s2, v64
	v_lshlrev_b32_e32 v2, 3, v19
	s_mov_b32 s3, 0xf0f1
	global_load_dwordx2 v[29:30], v2, s[14:15]
	v_mul_u32_u24_sdwa v2, v0, s3 dst_sel:DWORD dst_unused:UNUSED_PAD src0_sel:WORD_0 src1_sel:DWORD
	v_lshrrev_b32_e32 v20, 20, v2
	v_mul_lo_u16_e32 v2, 17, v20
	v_sub_u16_e32 v21, v0, v2
	s_movk_i32 s2, 0x165
	v_lshlrev_b16_e32 v2, 1, v21
	v_add_co_u32_e32 v1, vcc, s2, v64
	v_lshlrev_b32_e32 v2, 2, v2
	global_load_dwordx2 v[31:32], v2, s[14:15]
	v_mul_u32_u24_sdwa v2, v1, s3 dst_sel:DWORD dst_unused:UNUSED_PAD src0_sel:WORD_0 src1_sel:DWORD
	v_lshrrev_b32_e32 v22, 20, v2
	v_mul_lo_u16_e32 v2, 17, v22
	v_sub_u16_e32 v23, v1, v2
	v_lshlrev_b16_e32 v1, 1, v23
	s_movk_i32 s2, 0x1dc
	v_lshlrev_b32_e32 v1, 2, v1
	global_load_dwordx2 v[33:34], v1, s[14:15]
	v_add_co_u32_e32 v1, vcc, s2, v64
	v_mul_u32_u24_sdwa v2, v1, s3 dst_sel:DWORD dst_unused:UNUSED_PAD src0_sel:WORD_0 src1_sel:DWORD
	v_lshrrev_b32_e32 v25, 20, v2
	v_mul_lo_u16_e32 v2, 17, v25
	v_sub_u16_e32 v26, v1, v2
	v_lshlrev_b16_e32 v1, 1, v26
	v_lshlrev_b32_e32 v1, 2, v1
	global_load_dwordx2 v[35:36], v1, s[14:15]
	v_mov_b32_e32 v1, 2
	v_lshlrev_b32_sdwa v66, v1, v64 dst_sel:DWORD dst_unused:UNUSED_PAD src0_sel:DWORD src1_sel:WORD_0
	ds_read2_b32 v[1:2], v66 offset1:119
	v_add_u32_e32 v99, 0x600, v66
	v_add_u32_e32 v80, 0x1200, v66
	;; [unrolled: 1-line block ×6, first 2 shown]
	ds_read_b32 v37, v66 offset:6664
	ds_read2_b32 v[3:4], v99 offset0:92 offset1:211
	ds_read2_b32 v[5:6], v80 offset0:38 offset1:157
	;; [unrolled: 1-line block ×6, first 2 shown]
	s_waitcnt lgkmcnt(5)
	v_lshrrev_b32_e32 v41, 16, v4
	s_waitcnt lgkmcnt(3)
	v_lshrrev_b32_e32 v45, 16, v7
	v_lshrrev_b32_e32 v46, 16, v6
	v_lshrrev_b32_e32 v48, 16, v8
	s_waitcnt lgkmcnt(1)
	v_lshrrev_b32_e32 v49, 16, v11
	s_waitcnt lgkmcnt(0)
	v_lshrrev_b32_e32 v51, 16, v13
	v_lshrrev_b32_e32 v52, 16, v12
	;; [unrolled: 1-line block ×6, first 2 shown]
	s_movk_i32 s2, 0x3aee
	s_mov_b32 s3, 0xbaee
	v_lshrrev_b32_e32 v39, 16, v2
	v_mul_u32_u24_e32 v15, 51, v15
	v_lshrrev_b32_e32 v47, 16, v9
	v_add_lshl_u32 v137, v15, v16, 2
	s_waitcnt vmcnt(0)
	s_barrier
	v_lshrrev_b32_e32 v50, 16, v10
	v_lshrrev_b32_e32 v53, 16, v3
	s_mov_b32 s16, 0xbb9c
	s_movk_i32 s4, 0x38b4
	s_mov_b32 s17, 0xb8b4
	s_movk_i32 s5, 0x34f2
	v_mul_f16_sdwa v55, v41, v27 dst_sel:DWORD dst_unused:UNUSED_PAD src0_sel:DWORD src1_sel:WORD_1
	v_mul_f16_sdwa v56, v4, v27 dst_sel:DWORD dst_unused:UNUSED_PAD src0_sel:DWORD src1_sel:WORD_1
	v_fma_f16 v4, v4, v27, -v55
	v_mul_f16_sdwa v57, v44, v28 dst_sel:DWORD dst_unused:UNUSED_PAD src0_sel:DWORD src1_sel:WORD_1
	v_mul_f16_sdwa v58, v5, v28 dst_sel:DWORD dst_unused:UNUSED_PAD src0_sel:DWORD src1_sel:WORD_1
	v_fma_f16 v5, v5, v28, -v57
	v_fma_f16 v41, v41, v27, v56
	v_fma_f16 v44, v44, v28, v58
	v_add_f16_e32 v56, v4, v5
	v_mul_f16_sdwa v55, v45, v29 dst_sel:DWORD dst_unused:UNUSED_PAD src0_sel:DWORD src1_sel:WORD_1
	v_fma_f16 v55, v7, v29, -v55
	v_mul_f16_sdwa v7, v7, v29 dst_sel:DWORD dst_unused:UNUSED_PAD src0_sel:DWORD src1_sel:WORD_1
	v_fma_f16 v7, v45, v29, v7
	v_mul_f16_sdwa v45, v46, v30 dst_sel:DWORD dst_unused:UNUSED_PAD src0_sel:DWORD src1_sel:WORD_1
	v_fma_f16 v45, v6, v30, -v45
	v_mul_f16_sdwa v6, v6, v30 dst_sel:DWORD dst_unused:UNUSED_PAD src0_sel:DWORD src1_sel:WORD_1
	v_fma_f16 v6, v46, v30, v6
	;; [unrolled: 4-line block ×8, first 2 shown]
	v_add_f16_e32 v40, v1, v4
	v_fma_f16 v1, v56, -0.5, v1
	v_sub_f16_e32 v56, v41, v44
	v_fma_f16 v57, v56, s2, v1
	v_fma_f16 v1, v56, s3, v1
	v_add_f16_e32 v56, v38, v41
	v_add_f16_e32 v41, v41, v44
	v_fma_f16 v38, v41, -0.5, v38
	v_sub_f16_e32 v4, v4, v5
	v_add_f16_e32 v41, v55, v45
	v_add_f16_e32 v40, v40, v5
	v_fma_f16 v5, v4, s3, v38
	v_fma_f16 v4, v4, s2, v38
	v_add_f16_e32 v38, v2, v55
	v_fma_f16 v2, v41, -0.5, v2
	v_sub_f16_e32 v41, v7, v6
	v_add_f16_e32 v56, v56, v44
	v_fma_f16 v44, v41, s2, v2
	v_fma_f16 v2, v41, s3, v2
	v_add_f16_e32 v41, v39, v7
	v_add_f16_e32 v41, v41, v6
	;; [unrolled: 1-line block ×4, first 2 shown]
	v_fma_f16 v6, v6, -0.5, v39
	v_sub_f16_e32 v7, v55, v45
	v_add_f16_e32 v45, v46, v48
	v_fma_f16 v39, v7, s3, v6
	v_fma_f16 v6, v7, s2, v6
	v_add_f16_e32 v7, v9, v46
	v_fma_f16 v9, v45, -0.5, v9
	v_sub_f16_e32 v45, v8, v11
	v_pack_b32_f16 v1, v1, v4
	v_fma_f16 v55, v45, s2, v9
	v_fma_f16 v9, v45, s3, v9
	v_add_f16_e32 v45, v47, v8
	v_add_f16_e32 v8, v8, v11
	ds_write_b32 v137, v1 offset:136
	v_mul_u32_u24_e32 v1, 51, v18
	v_add_f16_e32 v45, v45, v11
	v_fma_f16 v8, v8, -0.5, v47
	v_sub_f16_e32 v11, v46, v48
	v_add_f16_e32 v47, v49, v51
	v_pack_b32_f16 v15, v40, v56
	v_pack_b32_f16 v5, v57, v5
	v_add_lshl_u32 v168, v1, v19, 2
	v_pack_b32_f16 v1, v38, v41
	v_pack_b32_f16 v4, v44, v39
	v_fma_f16 v46, v11, s3, v8
	v_fma_f16 v8, v11, s2, v8
	v_add_f16_e32 v11, v10, v49
	v_fma_f16 v10, v47, -0.5, v10
	v_sub_f16_e32 v47, v13, v12
	ds_write2_b32 v137, v15, v5 offset1:17
	ds_write2_b32 v168, v1, v4 offset1:17
	v_pack_b32_f16 v1, v2, v6
	v_add_f16_e32 v7, v7, v48
	v_fma_f16 v48, v47, s2, v10
	v_fma_f16 v10, v47, s3, v10
	v_add_f16_e32 v47, v50, v13
	ds_write_b32 v168, v1 offset:136
	v_mad_legacy_u16 v1, v20, 51, v21
	v_add_f16_e32 v47, v47, v12
	v_add_f16_e32 v12, v13, v12
	v_lshlrev_b32_e32 v169, 2, v1
	v_pack_b32_f16 v1, v7, v45
	v_pack_b32_f16 v2, v55, v46
	v_fma_f16 v12, v12, -0.5, v50
	v_sub_f16_e32 v13, v49, v51
	v_add_f16_e32 v50, v52, v54
	ds_write2_b32 v169, v1, v2 offset1:17
	v_pack_b32_f16 v1, v9, v8
	v_add_f16_e32 v11, v11, v51
	v_fma_f16 v49, v13, s3, v12
	v_fma_f16 v12, v13, s2, v12
	v_add_f16_e32 v13, v3, v52
	v_fma_f16 v3, v50, -0.5, v3
	v_sub_f16_e32 v50, v14, v37
	ds_write_b32 v169, v1 offset:136
	v_mad_legacy_u16 v1, v22, 51, v23
	v_fma_f16 v51, v50, s2, v3
	v_fma_f16 v3, v50, s3, v3
	v_add_f16_e32 v50, v53, v14
	v_add_f16_e32 v14, v14, v37
	v_lshlrev_b32_e32 v170, 2, v1
	v_pack_b32_f16 v1, v11, v47
	v_pack_b32_f16 v2, v48, v49
	v_add_f16_e32 v50, v50, v37
	v_fma_f16 v14, v14, -0.5, v53
	v_sub_f16_e32 v37, v52, v54
	ds_write2_b32 v170, v1, v2 offset1:17
	v_pack_b32_f16 v1, v10, v12
	v_add_f16_e32 v13, v13, v54
	v_fma_f16 v52, v37, s3, v14
	ds_write_b32 v170, v1 offset:136
	v_mad_legacy_u16 v1, v25, 51, v26
	v_fma_f16 v14, v37, s2, v14
	v_lshlrev_b32_e32 v172, 2, v1
	v_pack_b32_f16 v1, v13, v50
	v_pack_b32_f16 v2, v51, v52
	ds_write2_b32 v172, v1, v2 offset1:17
	v_pack_b32_f16 v1, v3, v14
	s_movk_i32 s2, 0xa1
	ds_write_b32 v172, v1 offset:136
	v_mul_lo_u16_sdwa v1, v64, s2 dst_sel:DWORD dst_unused:UNUSED_PAD src0_sel:BYTE_0 src1_sel:DWORD
	v_lshrrev_b16_e32 v3, 13, v1
	v_mul_lo_u16_e32 v1, 51, v3
	v_sub_u16_e32 v1, v64, v1
	v_and_b32_e32 v39, 0xff, v1
	v_lshlrev_b32_e32 v1, 4, v39
	s_waitcnt lgkmcnt(0)
	s_barrier
	global_load_dwordx4 v[4:7], v1, s[14:15] offset:136
	v_mul_lo_u16_sdwa v1, v17, s2 dst_sel:DWORD dst_unused:UNUSED_PAD src0_sel:BYTE_0 src1_sel:DWORD
	v_lshrrev_b16_e32 v40, 13, v1
	v_mul_lo_u16_e32 v1, 51, v40
	v_sub_u16_e32 v1, v17, v1
	v_and_b32_e32 v44, 0xff, v1
	v_lshlrev_b32_e32 v1, 4, v44
	global_load_dwordx4 v[8:11], v1, s[14:15] offset:136
	s_mov_b32 s2, 0xa0a1
	v_mul_u32_u24_sdwa v1, v0, s2 dst_sel:DWORD dst_unused:UNUSED_PAD src0_sel:WORD_0 src1_sel:DWORD
	v_lshrrev_b32_e32 v45, 21, v1
	v_mul_lo_u16_e32 v1, 51, v45
	v_sub_u16_e32 v46, v0, v1
	v_lshlrev_b16_e32 v1, 4, v46
	v_mov_b32_e32 v2, s15
	v_add_co_u32_e32 v1, vcc, s14, v1
	v_addc_co_u32_e32 v2, vcc, 0, v2, vcc
	global_load_dwordx4 v[12:15], v[1:2], off offset:136
	ds_read2_b32 v[1:2], v66 offset1:119
	ds_read2_b32 v[16:17], v102 offset0:110 offset1:229
	ds_read2_b32 v[18:19], v100 offset0:74 offset1:193
	;; [unrolled: 1-line block ×5, first 2 shown]
	s_waitcnt lgkmcnt(4)
	v_lshrrev_b32_e32 v47, 16, v17
	s_waitcnt lgkmcnt(3)
	v_lshrrev_b32_e32 v48, 16, v18
	;; [unrolled: 2-line block ×4, first 2 shown]
	ds_read2_b32 v[37:38], v80 offset0:38 offset1:157
	s_waitcnt lgkmcnt(1)
	v_lshrrev_b32_e32 v52, 16, v25
	v_lshrrev_b32_e32 v53, 16, v19
	;; [unrolled: 1-line block ×4, first 2 shown]
	s_waitcnt lgkmcnt(0)
	v_lshrrev_b32_e32 v54, 16, v37
	ds_read_b32 v56, v66 offset:6664
	v_lshrrev_b32_e32 v59, 16, v20
	v_lshrrev_b32_e32 v60, 16, v38
	s_movk_i32 s3, 0x3b9c
	v_lshrrev_b32_e32 v41, 16, v1
	s_waitcnt lgkmcnt(0)
	v_lshrrev_b32_e32 v72, 16, v56
	v_lshrrev_b32_e32 v51, 16, v2
	;; [unrolled: 1-line block ×3, first 2 shown]
	v_mul_u32_u24_e32 v3, 0xff, v3
	s_waitcnt vmcnt(0)
	s_barrier
	s_movk_i32 s2, 0xff
	v_mul_f16_sdwa v73, v47, v4 dst_sel:DWORD dst_unused:UNUSED_PAD src0_sel:DWORD src1_sel:WORD_1
	v_fma_f16 v73, v17, v4, -v73
	v_mul_f16_sdwa v17, v17, v4 dst_sel:DWORD dst_unused:UNUSED_PAD src0_sel:DWORD src1_sel:WORD_1
	v_fma_f16 v17, v47, v4, v17
	v_mul_f16_sdwa v47, v48, v5 dst_sel:DWORD dst_unused:UNUSED_PAD src0_sel:DWORD src1_sel:WORD_1
	v_fma_f16 v47, v18, v5, -v47
	v_mul_f16_sdwa v18, v18, v5 dst_sel:DWORD dst_unused:UNUSED_PAD src0_sel:DWORD src1_sel:WORD_1
	v_fma_f16 v18, v48, v5, v18
	;; [unrolled: 4-line block ×12, first 2 shown]
	v_add_f16_e32 v72, v1, v73
	v_add_f16_e32 v72, v72, v47
	;; [unrolled: 1-line block ×5, first 2 shown]
	v_fma_f16 v72, v72, -0.5, v1
	v_sub_f16_e32 v75, v17, v22
	v_fma_f16 v76, v75, s3, v72
	v_sub_f16_e32 v77, v18, v21
	v_sub_f16_e32 v78, v73, v47
	;; [unrolled: 1-line block ×3, first 2 shown]
	v_fma_f16 v72, v75, s16, v72
	v_fma_f16 v76, v77, s4, v76
	v_add_f16_e32 v78, v78, v79
	v_fma_f16 v72, v77, s17, v72
	v_fma_f16 v76, v78, s5, v76
	;; [unrolled: 1-line block ×3, first 2 shown]
	v_add_f16_e32 v72, v73, v49
	v_fma_f16 v1, v72, -0.5, v1
	v_fma_f16 v72, v77, s16, v1
	v_sub_f16_e32 v79, v47, v73
	v_sub_f16_e32 v82, v48, v49
	v_fma_f16 v72, v75, s4, v72
	v_add_f16_e32 v79, v79, v82
	v_fma_f16 v82, v79, s5, v72
	v_add_f16_e32 v72, v41, v17
	v_add_f16_e32 v72, v72, v18
	;; [unrolled: 1-line block ×3, first 2 shown]
	v_fma_f16 v1, v77, s3, v1
	v_add_f16_e32 v77, v72, v22
	v_add_f16_e32 v72, v18, v21
	v_fma_f16 v72, v72, -0.5, v41
	v_sub_f16_e32 v49, v73, v49
	v_fma_f16 v73, v49, s16, v72
	v_sub_f16_e32 v47, v47, v48
	v_fma_f16 v1, v75, s17, v1
	v_fma_f16 v48, v47, s17, v73
	v_sub_f16_e32 v73, v17, v18
	v_sub_f16_e32 v75, v22, v21
	v_fma_f16 v72, v49, s3, v72
	v_add_f16_e32 v73, v73, v75
	v_fma_f16 v72, v47, s4, v72
	v_fma_f16 v48, v73, s5, v48
	;; [unrolled: 1-line block ×3, first 2 shown]
	v_add_f16_e32 v72, v17, v22
	v_fma_f16 v41, v72, -0.5, v41
	v_fma_f16 v72, v47, s3, v41
	v_sub_f16_e32 v17, v18, v17
	v_sub_f16_e32 v18, v21, v22
	v_add_f16_e32 v22, v52, v53
	v_fma_f16 v72, v49, s17, v72
	v_add_f16_e32 v17, v17, v18
	v_fma_f16 v21, v47, s16, v41
	v_fma_f16 v22, v22, -0.5, v2
	v_sub_f16_e32 v41, v25, v23
	v_fma_f16 v18, v17, s5, v72
	v_fma_f16 v21, v49, s4, v21
	;; [unrolled: 1-line block ×3, first 2 shown]
	v_sub_f16_e32 v49, v19, v37
	v_sub_f16_e32 v72, v50, v52
	;; [unrolled: 1-line block ×3, first 2 shown]
	v_fma_f16 v22, v41, s16, v22
	v_fma_f16 v47, v49, s4, v47
	v_add_f16_e32 v72, v72, v75
	v_fma_f16 v22, v49, s17, v22
	v_fma_f16 v47, v72, s5, v47
	;; [unrolled: 1-line block ×3, first 2 shown]
	v_add_f16_e32 v72, v50, v54
	v_fma_f16 v17, v17, s5, v21
	v_add_f16_e32 v21, v2, v50
	v_fma_f16 v2, v72, -0.5, v2
	v_fma_f16 v72, v49, s16, v2
	v_fma_f16 v2, v49, s3, v2
	;; [unrolled: 1-line block ×4, first 2 shown]
	v_add_f16_e32 v41, v51, v25
	v_add_f16_e32 v41, v41, v19
	v_add_f16_e32 v41, v41, v37
	v_add_f16_e32 v21, v21, v52
	v_add_f16_e32 v49, v41, v23
	v_add_f16_e32 v41, v19, v37
	v_fma_f16 v1, v79, s5, v1
	v_add_f16_e32 v21, v21, v53
	v_sub_f16_e32 v75, v52, v50
	v_sub_f16_e32 v79, v53, v54
	v_fma_f16 v41, v41, -0.5, v51
	v_sub_f16_e32 v50, v50, v54
	v_add_f16_e32 v21, v21, v54
	v_add_f16_e32 v75, v75, v79
	v_fma_f16 v54, v50, s16, v41
	v_sub_f16_e32 v52, v52, v53
	v_fma_f16 v79, v75, s5, v72
	v_fma_f16 v53, v52, s17, v54
	v_sub_f16_e32 v54, v25, v19
	v_sub_f16_e32 v72, v23, v37
	v_fma_f16 v41, v50, s3, v41
	v_add_f16_e32 v54, v54, v72
	v_fma_f16 v41, v52, s4, v41
	v_fma_f16 v53, v54, s5, v53
	;; [unrolled: 1-line block ×3, first 2 shown]
	v_add_f16_e32 v41, v25, v23
	v_fma_f16 v41, v41, -0.5, v51
	v_fma_f16 v51, v52, s3, v41
	v_sub_f16_e32 v19, v19, v25
	v_sub_f16_e32 v23, v37, v23
	v_fma_f16 v25, v52, s16, v41
	v_add_f16_e32 v37, v58, v59
	v_fma_f16 v51, v50, s17, v51
	v_add_f16_e32 v19, v19, v23
	v_fma_f16 v25, v50, s4, v25
	v_fma_f16 v37, v37, -0.5, v16
	v_sub_f16_e32 v50, v26, v56
	v_fma_f16 v23, v19, s5, v51
	v_fma_f16 v41, v50, s3, v37
	v_sub_f16_e32 v51, v20, v38
	v_sub_f16_e32 v52, v55, v58
	;; [unrolled: 1-line block ×3, first 2 shown]
	v_fma_f16 v37, v50, s16, v37
	v_fma_f16 v41, v51, s4, v41
	v_add_f16_e32 v52, v52, v72
	v_fma_f16 v37, v51, s17, v37
	v_fma_f16 v83, v52, s5, v41
	;; [unrolled: 1-line block ×3, first 2 shown]
	v_add_f16_e32 v37, v55, v60
	v_fma_f16 v19, v19, s5, v25
	v_add_f16_e32 v25, v16, v55
	v_fma_f16 v16, v37, -0.5, v16
	v_fma_f16 v37, v51, s16, v16
	v_sub_f16_e32 v52, v58, v55
	v_sub_f16_e32 v72, v59, v60
	v_fma_f16 v16, v51, s3, v16
	v_add_f16_e32 v25, v25, v58
	v_fma_f16 v37, v50, s4, v37
	v_add_f16_e32 v52, v52, v72
	;; [unrolled: 2-line block ×3, first 2 shown]
	v_add_f16_e32 v25, v25, v59
	v_fma_f16 v37, v52, s5, v37
	v_fma_f16 v16, v52, s5, v16
	v_fma_f16 v51, v51, -0.5, v57
	v_sub_f16_e32 v52, v55, v60
	v_add_f16_e32 v25, v25, v60
	v_fma_f16 v55, v52, s16, v51
	v_sub_f16_e32 v58, v58, v59
	v_sub_f16_e32 v59, v26, v20
	;; [unrolled: 1-line block ×3, first 2 shown]
	v_fma_f16 v51, v52, s3, v51
	v_add_f16_e32 v59, v59, v60
	v_fma_f16 v51, v58, s4, v51
	v_fma_f16 v2, v75, s5, v2
	v_add_f16_e32 v50, v57, v26
	v_fma_f16 v75, v59, s5, v51
	v_add_f16_e32 v51, v26, v56
	v_add_f16_e32 v50, v50, v20
	v_fma_f16 v51, v51, -0.5, v57
	v_add_f16_e32 v50, v50, v38
	v_fma_f16 v57, v58, s3, v51
	v_sub_f16_e32 v20, v20, v26
	v_sub_f16_e32 v26, v38, v56
	v_fma_f16 v38, v58, s16, v51
	v_fma_f16 v57, v52, s17, v57
	v_add_f16_e32 v20, v20, v26
	v_fma_f16 v38, v52, s4, v38
	v_fma_f16 v26, v20, s5, v57
	;; [unrolled: 1-line block ×3, first 2 shown]
	v_add_lshl_u32 v72, v3, v39, 2
	v_pack_b32_f16 v3, v74, v77
	v_pack_b32_f16 v38, v76, v48
	ds_write2_b32 v72, v3, v38 offset1:51
	v_pack_b32_f16 v3, v82, v18
	v_pack_b32_f16 v1, v1, v17
	ds_write2_b32 v72, v3, v1 offset0:102 offset1:153
	v_pack_b32_f16 v1, v78, v73
	ds_write_b32 v72, v1 offset:816
	v_mul_u32_u24_e32 v1, 0xff, v40
	v_add_lshl_u32 v73, v1, v44, 2
	v_pack_b32_f16 v1, v21, v49
	v_pack_b32_f16 v3, v47, v53
	ds_write2_b32 v73, v1, v3 offset1:51
	v_pack_b32_f16 v1, v79, v23
	v_pack_b32_f16 v2, v2, v19
	v_fma_f16 v55, v58, s17, v55
	ds_write2_b32 v73, v1, v2 offset0:102 offset1:153
	v_pack_b32_f16 v1, v22, v54
	v_add_f16_e32 v50, v50, v56
	v_fma_f16 v55, v59, s5, v55
	ds_write_b32 v73, v1 offset:816
	v_mad_legacy_u16 v1, v45, s2, v46
	v_lshlrev_b32_e32 v74, 2, v1
	v_pack_b32_f16 v1, v25, v50
	v_pack_b32_f16 v2, v83, v55
	ds_write2_b32 v74, v1, v2 offset1:51
	v_pack_b32_f16 v1, v37, v26
	v_pack_b32_f16 v2, v16, v20
	ds_write2_b32 v74, v1, v2 offset0:102 offset1:153
	v_pack_b32_f16 v1, v41, v75
	ds_write_b32 v74, v1 offset:816
	s_waitcnt lgkmcnt(0)
	s_barrier
	ds_read2_b32 v[45:46], v66 offset1:119
	ds_read2_b32 v[47:48], v102 offset0:127 offset1:246
	ds_read2_b32 v[49:50], v99 offset0:126 offset1:245
	;; [unrolled: 1-line block ×6, first 2 shown]
	v_cmp_gt_u16_e64 s[2:3], 17, v64
                                        ; implicit-def: $vgpr79
                                        ; implicit-def: $vgpr60
                                        ; implicit-def: $vgpr77
                                        ; implicit-def: $vgpr76
                                        ; implicit-def: $vgpr78
                                        ; implicit-def: $vgpr82
	s_and_saveexec_b64 s[4:5], s[2:3]
	s_cbranch_execz .LBB0_9
; %bb.8:
	v_add_u32_e32 v1, 0x3b8, v66
	ds_read2_b32 v[41:42], v1 offset1:255
	v_add_u32_e32 v1, 0xbb0, v66
	v_add_u32_e32 v2, 0x13a8, v66
	ds_read2_b32 v[43:44], v1 offset1:255
	ds_read2_b32 v[59:60], v2 offset1:255
	ds_read_b32 v76, v66 offset:7072
	s_waitcnt lgkmcnt(3)
	v_lshrrev_b32_e32 v75, 16, v41
	v_lshrrev_b32_e32 v61, 16, v42
	s_waitcnt lgkmcnt(2)
	v_lshrrev_b32_e32 v62, 16, v43
	v_lshrrev_b32_e32 v79, 16, v44
	;; [unrolled: 3-line block ×3, first 2 shown]
	s_waitcnt lgkmcnt(0)
	v_lshrrev_b32_e32 v78, 16, v76
.LBB0_9:
	s_or_b64 exec, exec, s[4:5]
	v_mad_u64_u32 v[1:2], s[4:5], v64, 24, s[14:15]
	v_subrev_u32_e32 v3, 17, v64
	v_cndmask_b32_e64 v0, v3, v0, s[2:3]
	v_mul_hi_i32_i24_e32 v3, 24, v0
	v_mul_i32_i24_e32 v0, 24, v0
	v_mov_b32_e32 v25, s15
	v_add_co_u32_e32 v83, vcc, s14, v0
	global_load_dwordx4 v[16:19], v[1:2], off offset:952
	global_load_dwordx2 v[37:38], v[1:2], off offset:968
	global_load_dwordx4 v[20:23], v[1:2], off offset:3808
	v_addc_co_u32_e32 v84, vcc, v25, v3, vcc
	global_load_dwordx2 v[39:40], v[1:2], off offset:3824
	s_nop 0
	global_load_dwordx4 v[0:3], v[83:84], off offset:952
	global_load_dwordx2 v[25:26], v[83:84], off offset:968
	s_waitcnt lgkmcnt(5)
	v_lshrrev_b32_e32 v83, 16, v47
	v_lshrrev_b32_e32 v89, 16, v48
	s_waitcnt lgkmcnt(4)
	v_lshrrev_b32_e32 v84, 16, v49
	s_waitcnt lgkmcnt(3)
	;; [unrolled: 2-line block ×5, first 2 shown]
	v_lshrrev_b32_e32 v88, 16, v57
	v_lshrrev_b32_e32 v90, 16, v50
	;; [unrolled: 1-line block ×5, first 2 shown]
	s_movk_i32 s4, 0x2b26
	s_movk_i32 s5, 0x3b00
	s_mov_b32 s14, 0xbcab
	s_movk_i32 s15, 0x39e0
	s_mov_b32 s16, 0xb9e0
	;; [unrolled: 2-line block ×3, first 2 shown]
	v_lshrrev_b32_e32 v92, 16, v54
	s_movk_i32 s19, 0x370e
	s_waitcnt vmcnt(5)
	v_mul_f16_sdwa v95, v83, v16 dst_sel:DWORD dst_unused:UNUSED_PAD src0_sel:DWORD src1_sel:WORD_1
	v_mul_f16_sdwa v98, v49, v17 dst_sel:DWORD dst_unused:UNUSED_PAD src0_sel:DWORD src1_sel:WORD_1
	s_waitcnt vmcnt(3)
	v_mul_f16_sdwa v111, v89, v20 dst_sel:DWORD dst_unused:UNUSED_PAD src0_sel:DWORD src1_sel:WORD_1
	v_mul_f16_sdwa v96, v47, v16 dst_sel:DWORD dst_unused:UNUSED_PAD src0_sel:DWORD src1_sel:WORD_1
	;; [unrolled: 1-line block ×3, first 2 shown]
	s_waitcnt vmcnt(1)
	v_mul_f16_sdwa v127, v79, v2 dst_sel:DWORD dst_unused:UNUSED_PAD src0_sel:DWORD src1_sel:WORD_1
	v_mul_f16_sdwa v112, v48, v20 dst_sel:DWORD dst_unused:UNUSED_PAD src0_sel:DWORD src1_sel:WORD_1
	v_fma_f16 v47, v47, v16, -v95
	v_fma_f16 v84, v84, v17, v98
	v_fma_f16 v95, v48, v20, -v111
	v_fma_f16 v98, v44, v2, -v127
	v_mul_f16_sdwa v44, v44, v2 dst_sel:DWORD dst_unused:UNUSED_PAD src0_sel:DWORD src1_sel:WORD_1
	v_mul_f16_sdwa v48, v82, v3 dst_sel:DWORD dst_unused:UNUSED_PAD src0_sel:DWORD src1_sel:WORD_1
	;; [unrolled: 1-line block ×3, first 2 shown]
	v_fma_f16 v44, v79, v2, v44
	v_fma_f16 v79, v59, v3, -v48
	v_mul_f16_sdwa v48, v59, v3 dst_sel:DWORD dst_unused:UNUSED_PAD src0_sel:DWORD src1_sel:WORD_1
	v_mul_f16_sdwa v104, v51, v18 dst_sel:DWORD dst_unused:UNUSED_PAD src0_sel:DWORD src1_sel:WORD_1
	v_fma_f16 v51, v51, v18, -v103
	v_fma_f16 v103, v82, v3, v48
	s_waitcnt vmcnt(0)
	v_mul_f16_sdwa v48, v77, v25 dst_sel:DWORD dst_unused:UNUSED_PAD src0_sel:DWORD src1_sel:WORD_1
	v_fma_f16 v85, v85, v18, v104
	v_fma_f16 v104, v60, v25, -v48
	v_mul_f16_sdwa v48, v60, v25 dst_sel:DWORD dst_unused:UNUSED_PAD src0_sel:DWORD src1_sel:WORD_1
	v_mul_f16_sdwa v105, v86, v19 dst_sel:DWORD dst_unused:UNUSED_PAD src0_sel:DWORD src1_sel:WORD_1
	;; [unrolled: 1-line block ×6, first 2 shown]
	v_fma_f16 v77, v77, v25, v48
	v_mul_f16_sdwa v48, v78, v26 dst_sel:DWORD dst_unused:UNUSED_PAD src0_sel:DWORD src1_sel:WORD_1
	v_mul_f16_sdwa v106, v53, v19 dst_sel:DWORD dst_unused:UNUSED_PAD src0_sel:DWORD src1_sel:WORD_1
	;; [unrolled: 1-line block ×3, first 2 shown]
	v_fma_f16 v83, v83, v16, v96
	v_fma_f16 v49, v49, v17, -v97
	v_fma_f16 v53, v53, v19, -v105
	;; [unrolled: 1-line block ×3, first 2 shown]
	v_fma_f16 v87, v87, v37, v108
	v_fma_f16 v57, v57, v38, -v109
	v_fma_f16 v88, v88, v38, v110
	v_fma_f16 v105, v76, v26, -v48
	v_mul_f16_sdwa v48, v76, v26 dst_sel:DWORD dst_unused:UNUSED_PAD src0_sel:DWORD src1_sel:WORD_1
	v_mul_f16_sdwa v114, v50, v21 dst_sel:DWORD dst_unused:UNUSED_PAD src0_sel:DWORD src1_sel:WORD_1
	;; [unrolled: 1-line block ×3, first 2 shown]
	v_fma_f16 v86, v86, v19, v106
	v_fma_f16 v96, v50, v21, -v113
	v_fma_f16 v76, v78, v26, v48
	v_add_f16_e32 v48, v47, v57
	v_add_f16_e32 v50, v83, v88
	v_sub_f16_e32 v47, v47, v57
	v_add_f16_e32 v57, v49, v55
	v_add_f16_e32 v59, v84, v87
	v_mul_f16_sdwa v116, v52, v22 dst_sel:DWORD dst_unused:UNUSED_PAD src0_sel:DWORD src1_sel:WORD_1
	v_fma_f16 v97, v52, v22, -v115
	v_sub_f16_e32 v52, v83, v88
	v_sub_f16_e32 v49, v49, v55
	;; [unrolled: 1-line block ×3, first 2 shown]
	v_add_f16_e32 v60, v51, v53
	v_add_f16_e32 v78, v85, v86
	v_sub_f16_e32 v51, v53, v51
	v_sub_f16_e32 v53, v86, v85
	v_add_f16_e32 v82, v57, v48
	v_add_f16_e32 v83, v59, v50
	v_sub_f16_e32 v84, v57, v48
	v_sub_f16_e32 v85, v59, v50
	;; [unrolled: 1-line block ×6, first 2 shown]
	v_add_f16_e32 v86, v51, v49
	v_add_f16_e32 v87, v53, v55
	v_sub_f16_e32 v88, v51, v49
	v_sub_f16_e32 v106, v53, v55
	;; [unrolled: 1-line block ×4, first 2 shown]
	v_add_f16_e32 v60, v60, v82
	v_add_f16_e32 v78, v78, v83
	v_sub_f16_e32 v51, v47, v51
	v_sub_f16_e32 v53, v52, v53
	v_add_f16_e32 v82, v86, v47
	v_add_f16_e32 v52, v87, v52
	;; [unrolled: 1-line block ×3, first 2 shown]
	v_add_f16_sdwa v45, v45, v78 dst_sel:DWORD dst_unused:UNUSED_PAD src0_sel:WORD_1 src1_sel:DWORD
	v_mul_f16_e32 v48, 0x3a52, v48
	v_mul_f16_e32 v50, 0x3a52, v50
	;; [unrolled: 1-line block ×8, first 2 shown]
	v_mul_f16_sdwa v119, v93, v39 dst_sel:DWORD dst_unused:UNUSED_PAD src0_sel:DWORD src1_sel:WORD_1
	v_mul_f16_sdwa v120, v56, v39 dst_sel:DWORD dst_unused:UNUSED_PAD src0_sel:DWORD src1_sel:WORD_1
	;; [unrolled: 1-line block ×4, first 2 shown]
	v_fma_f16 v60, v60, s14, v47
	v_fma_f16 v78, v78, s14, v45
	;; [unrolled: 1-line block ×4, first 2 shown]
	v_fma_f16 v83, v84, s15, -v83
	v_fma_f16 v86, v85, s15, -v86
	;; [unrolled: 1-line block ×4, first 2 shown]
	v_fma_f16 v84, v51, s17, v87
	v_fma_f16 v85, v53, s17, v88
	v_fma_f16 v49, v49, s5, -v87
	v_fma_f16 v55, v55, s5, -v88
	;; [unrolled: 1-line block ×4, first 2 shown]
	v_mul_f16_sdwa v117, v92, v23 dst_sel:DWORD dst_unused:UNUSED_PAD src0_sel:DWORD src1_sel:WORD_1
	v_mul_f16_sdwa v118, v54, v23 dst_sel:DWORD dst_unused:UNUSED_PAD src0_sel:DWORD src1_sel:WORD_1
	v_fma_f16 v89, v89, v20, v112
	v_fma_f16 v90, v90, v21, v114
	v_fma_f16 v56, v56, v39, -v119
	v_fma_f16 v93, v93, v39, v120
	v_fma_f16 v58, v58, v40, -v121
	v_fma_f16 v94, v94, v40, v122
	v_add_f16_e32 v57, v57, v60
	v_add_f16_e32 v59, v59, v78
	v_add_f16_e32 v87, v83, v60
	v_add_f16_e32 v86, v86, v78
	v_add_f16_e32 v60, v48, v60
	v_add_f16_e32 v78, v50, v78
	v_fma_f16 v106, v52, s19, v85
	v_fma_f16 v85, v82, s19, v49
	;; [unrolled: 1-line block ×6, first 2 shown]
	v_fma_f16 v54, v54, v23, -v117
	v_fma_f16 v92, v92, v23, v118
	v_fma_f16 v88, v82, s19, v84
	v_add_f16_e32 v48, v106, v57
	v_add_f16_e32 v49, v52, v60
	v_sub_f16_e32 v83, v78, v107
	v_sub_f16_e32 v50, v87, v55
	v_add_f16_e32 v84, v85, v86
	v_add_f16_e32 v51, v55, v87
	v_sub_f16_e32 v85, v86, v85
	v_sub_f16_e32 v52, v60, v52
	v_add_f16_e32 v86, v107, v78
	v_sub_f16_e32 v53, v57, v106
	v_add_f16_e32 v55, v95, v58
	v_add_f16_e32 v57, v89, v94
	;; [unrolled: 1-line block ×4, first 2 shown]
	v_sub_f16_e32 v82, v59, v88
	v_add_f16_e32 v87, v88, v59
	v_sub_f16_e32 v59, v89, v94
	v_sub_f16_e32 v56, v96, v56
	;; [unrolled: 1-line block ×3, first 2 shown]
	v_add_f16_e32 v89, v97, v54
	v_add_f16_e32 v90, v91, v92
	v_sub_f16_e32 v54, v54, v97
	v_sub_f16_e32 v91, v92, v91
	v_add_f16_e32 v92, v60, v55
	v_add_f16_e32 v93, v78, v57
	v_sub_f16_e32 v58, v95, v58
	v_sub_f16_e32 v94, v60, v55
	;; [unrolled: 1-line block ×7, first 2 shown]
	v_add_f16_e32 v96, v54, v56
	v_sub_f16_e32 v106, v54, v56
	v_sub_f16_e32 v107, v91, v88
	v_sub_f16_e32 v109, v88, v59
	v_add_f16_e32 v89, v89, v92
	v_add_f16_e32 v90, v90, v93
	;; [unrolled: 1-line block ×3, first 2 shown]
	v_sub_f16_e32 v108, v58, v54
	v_sub_f16_e32 v91, v59, v91
	;; [unrolled: 1-line block ×3, first 2 shown]
	v_add_f16_e32 v58, v96, v58
	v_add_f16_e32 v54, v46, v89
	v_add_f16_sdwa v88, v46, v90 dst_sel:DWORD dst_unused:UNUSED_PAD src0_sel:WORD_1 src1_sel:DWORD
	v_mul_f16_e32 v46, 0x3a52, v55
	v_mul_f16_e32 v55, 0x3a52, v57
	;; [unrolled: 1-line block ×7, first 2 shown]
	v_mul_f16_sdwa v123, v61, v0 dst_sel:DWORD dst_unused:UNUSED_PAD src0_sel:DWORD src1_sel:WORD_1
	v_mul_f16_sdwa v124, v42, v0 dst_sel:DWORD dst_unused:UNUSED_PAD src0_sel:DWORD src1_sel:WORD_1
	;; [unrolled: 1-line block ×3, first 2 shown]
	v_add_f16_e32 v59, v97, v59
	v_mul_f16_e32 v97, 0x3b00, v56
	v_fma_f16 v89, v89, s14, v54
	v_fma_f16 v90, v90, s14, v88
	;; [unrolled: 1-line block ×4, first 2 shown]
	v_fma_f16 v57, v94, s15, -v57
	v_fma_f16 v92, v95, s15, -v92
	;; [unrolled: 1-line block ×4, first 2 shown]
	v_fma_f16 v94, v108, s17, v93
	v_fma_f16 v95, v91, s17, v96
	v_fma_f16 v56, v56, s5, -v93
	v_fma_f16 v93, v109, s5, -v96
	;; [unrolled: 1-line block ×3, first 2 shown]
	v_mul_f16_sdwa v126, v43, v1 dst_sel:DWORD dst_unused:UNUSED_PAD src0_sel:DWORD src1_sel:WORD_1
	v_fma_f16 v42, v42, v0, -v123
	v_fma_f16 v61, v61, v0, v124
	v_fma_f16 v43, v43, v1, -v125
	v_fma_f16 v96, v108, s18, -v97
	v_add_f16_e32 v78, v78, v90
	v_add_f16_e32 v46, v46, v89
	v_fma_f16 v94, v58, s19, v94
	v_fma_f16 v95, v59, s19, v95
	;; [unrolled: 1-line block ×5, first 2 shown]
	v_add_f16_e32 v60, v60, v89
	v_add_f16_e32 v97, v57, v89
	;; [unrolled: 1-line block ×3, first 2 shown]
	v_fma_f16 v107, v58, s19, v56
	v_fma_f16 v96, v58, s19, v96
	v_sub_f16_e32 v89, v78, v94
	v_add_f16_e32 v56, v59, v46
	v_sub_f16_e32 v59, v46, v59
	v_add_f16_e32 v94, v94, v78
	v_add_f16_e32 v46, v42, v105
	;; [unrolled: 1-line block ×3, first 2 shown]
	v_sub_f16_e32 v61, v61, v76
	v_add_f16_e32 v76, v43, v104
	v_add_f16_e32 v92, v92, v90
	;; [unrolled: 1-line block ×3, first 2 shown]
	v_sub_f16_e32 v90, v106, v96
	v_sub_f16_e32 v57, v97, v93
	v_add_f16_e32 v58, v93, v97
	v_add_f16_e32 v93, v96, v106
	v_sub_f16_e32 v60, v60, v95
	v_add_f16_e32 v95, v62, v77
	v_sub_f16_e32 v62, v62, v77
	v_add_f16_e32 v77, v98, v79
	v_add_f16_e32 v96, v44, v103
	v_sub_f16_e32 v44, v103, v44
	v_add_f16_e32 v97, v76, v46
	v_sub_f16_e32 v42, v42, v105
	v_sub_f16_e32 v43, v43, v104
	;; [unrolled: 1-line block ×3, first 2 shown]
	v_add_f16_e32 v98, v95, v78
	v_sub_f16_e32 v103, v76, v46
	v_sub_f16_e32 v104, v95, v78
	;; [unrolled: 1-line block ×6, first 2 shown]
	v_add_f16_e32 v106, v44, v62
	v_sub_f16_e32 v108, v44, v62
	v_sub_f16_e32 v62, v62, v61
	v_add_f16_e32 v77, v77, v97
	v_add_f16_e32 v91, v107, v92
	v_sub_f16_e32 v92, v92, v107
	v_add_f16_e32 v95, v79, v43
	v_sub_f16_e32 v107, v79, v43
	v_sub_f16_e32 v44, v61, v44
	;; [unrolled: 1-line block ×3, first 2 shown]
	v_add_f16_e32 v96, v96, v98
	v_add_f16_e32 v97, v106, v61
	;; [unrolled: 1-line block ×3, first 2 shown]
	v_mul_f16_e32 v41, 0x3a52, v46
	v_mul_f16_e32 v46, 0x3a52, v78
	;; [unrolled: 1-line block ×5, first 2 shown]
	v_sub_f16_e32 v79, v42, v79
	v_add_f16_e32 v42, v95, v42
	v_add_f16_e32 v95, v75, v96
	v_mul_f16_e32 v75, 0x2b26, v76
	v_mul_f16_e32 v98, 0xb846, v107
	;; [unrolled: 1-line block ×3, first 2 shown]
	v_fma_f16 v77, v77, s14, v61
	v_fma_f16 v76, v76, s4, v41
	;; [unrolled: 1-line block ×3, first 2 shown]
	v_fma_f16 v78, v104, s15, -v78
	v_fma_f16 v41, v103, s16, -v41
	;; [unrolled: 1-line block ×3, first 2 shown]
	v_fma_f16 v104, v44, s17, v106
	v_fma_f16 v44, v44, s18, -v108
	v_fma_f16 v96, v96, s14, v95
	v_fma_f16 v75, v103, s15, -v75
	;; [unrolled: 2-line block ×3, first 2 shown]
	v_add_f16_e32 v41, v41, v77
	v_fma_f16 v44, v97, s19, v44
	v_fma_f16 v43, v43, s5, -v98
	v_fma_f16 v62, v62, s5, -v106
	v_add_f16_e32 v46, v46, v96
	v_fma_f16 v79, v42, s19, v79
	v_add_f16_e32 v98, v44, v41
	v_sub_f16_e32 v44, v41, v44
	v_pack_b32_f16 v41, v47, v45
	v_pack_b32_f16 v108, v54, v88
	v_add_f16_e32 v106, v76, v77
	v_add_f16_e32 v105, v105, v96
	v_add_f16_e32 v75, v75, v77
	v_fma_f16 v103, v42, s19, v103
	v_fma_f16 v104, v97, s19, v104
	;; [unrolled: 1-line block ×4, first 2 shown]
	v_sub_f16_e32 v97, v46, v79
	v_add_f16_e32 v167, v79, v46
	v_pack_b32_f16 v46, v48, v82
	ds_write2_b32 v66, v41, v108 offset1:119
	v_pack_b32_f16 v41, v55, v89
	v_add_f16_e32 v78, v78, v96
	v_sub_f16_e32 v96, v105, v103
	v_add_f16_e32 v79, v103, v105
	v_pack_b32_f16 v103, v49, v83
	ds_write2_b32 v102, v46, v41 offset0:127 offset1:246
	v_pack_b32_f16 v41, v56, v90
	v_add_f16_e32 v62, v104, v106
	v_add_f16_e32 v76, v77, v78
	v_sub_f16_e32 v77, v78, v77
	v_sub_f16_e32 v78, v106, v104
	v_pack_b32_f16 v104, v50, v84
	ds_write2_b32 v99, v103, v41 offset0:126 offset1:245
	v_pack_b32_f16 v41, v57, v91
	v_pack_b32_f16 v105, v51, v85
	ds_write2_b32 v100, v104, v41 offset0:125 offset1:244
	v_pack_b32_f16 v41, v58, v92
	;; [unrolled: 3-line block ×3, first 2 shown]
	v_sub_f16_e32 v42, v75, v43
	v_add_f16_e32 v43, v43, v75
	v_pack_b32_f16 v107, v53, v87
	ds_write2_b32 v80, v106, v41 offset0:123 offset1:242
	v_pack_b32_f16 v41, v60, v94
	ds_write2_b32 v81, v107, v41 offset0:122 offset1:241
	s_and_saveexec_b64 s[4:5], s[2:3]
	s_cbranch_execz .LBB0_11
; %bb.10:
	s_mov_b32 s14, 0x5040100
	v_perm_b32 v41, v95, v61, s14
	v_perm_b32 v46, v96, v62, s14
	v_add_u32_e32 v80, 0x3b8, v66
	ds_write2_b32 v80, v41, v46 offset1:255
	v_perm_b32 v41, v97, v98, s14
	v_perm_b32 v46, v76, v42, s14
	v_add_u32_e32 v80, 0xbb0, v66
	ds_write2_b32 v80, v41, v46 offset1:255
	;; [unrolled: 4-line block ×3, first 2 shown]
	v_perm_b32 v41, v79, v78, s14
	ds_write_b32 v66, v41 offset:7072
.LBB0_11:
	s_or_b64 exec, exec, s[4:5]
	s_waitcnt lgkmcnt(0)
	s_barrier
	s_and_saveexec_b64 s[4:5], s[0:1]
	s_cbranch_execz .LBB0_13
; %bb.12:
	v_mov_b32_e32 v41, s7
	v_add_co_u32_e32 v46, vcc, s6, v63
	v_addc_co_u32_e32 v41, vcc, 0, v41, vcc
	v_add_co_u32_e32 v80, vcc, 0x1be4, v46
	v_addc_co_u32_e32 v81, vcc, 0, v41, vcc
	;; [unrolled: 2-line block ×3, first 2 shown]
	global_load_dword v103, v[99:100], off offset:3044
	global_load_dword v105, v[80:81], off offset:420
	;; [unrolled: 1-line block ×9, first 2 shown]
	s_movk_i32 s14, 0x2000
	v_add_co_u32_e32 v99, vcc, s14, v46
	s_movk_i32 s15, 0x3000
	v_addc_co_u32_e32 v100, vcc, 0, v41, vcc
	v_add_co_u32_e32 v101, vcc, s15, v46
	v_addc_co_u32_e32 v102, vcc, 0, v41, vcc
	global_load_dword v41, v[99:100], off offset:3148
	global_load_dword v46, v[99:100], off offset:3568
	global_load_dword v113, v[99:100], off offset:3988
	global_load_dword v114, v[101:102], off offset:312
	global_load_dword v115, v[101:102], off offset:732
	global_load_dword v116, v[101:102], off offset:1152
	global_load_dword v117, v[80:81], off offset:3780
	global_load_dword v121, v[101:102], off offset:1572
	ds_read_b32 v80, v66
	v_add_u32_e32 v118, 0x400, v63
	v_add_u32_e32 v119, 0x800, v63
	;; [unrolled: 1-line block ×3, first 2 shown]
	s_waitcnt lgkmcnt(0)
	v_lshrrev_b32_e32 v81, 16, v80
	s_waitcnt vmcnt(16)
	v_mul_f16_sdwa v99, v81, v103 dst_sel:DWORD dst_unused:UNUSED_PAD src0_sel:DWORD src1_sel:WORD_1
	v_mul_f16_sdwa v100, v80, v103 dst_sel:DWORD dst_unused:UNUSED_PAD src0_sel:DWORD src1_sel:WORD_1
	v_fma_f16 v80, v80, v103, -v99
	v_fma_f16 v81, v81, v103, v100
	v_pack_b32_f16 v80, v80, v81
	ds_write_b32 v66, v80
	ds_read2_b32 v[80:81], v63 offset0:105 offset1:210
	ds_read2_b32 v[99:100], v118 offset0:59 offset1:164
	;; [unrolled: 1-line block ×4, first 2 shown]
	s_waitcnt lgkmcnt(2)
	v_lshrrev_b32_e32 v126, 16, v99
	v_lshrrev_b32_e32 v122, 16, v80
	s_waitcnt vmcnt(15)
	v_mul_f16_sdwa v123, v80, v105 dst_sel:DWORD dst_unused:UNUSED_PAD src0_sel:DWORD src1_sel:WORD_1
	v_lshrrev_b32_e32 v124, 16, v81
	s_waitcnt vmcnt(14)
	v_mul_f16_sdwa v125, v81, v106 dst_sel:DWORD dst_unused:UNUSED_PAD src0_sel:DWORD src1_sel:WORD_1
	s_waitcnt vmcnt(13)
	v_mul_f16_sdwa v127, v99, v107 dst_sel:DWORD dst_unused:UNUSED_PAD src0_sel:DWORD src1_sel:WORD_1
	v_lshrrev_b32_e32 v128, 16, v100
	s_waitcnt vmcnt(12)
	v_mul_f16_sdwa v129, v100, v108 dst_sel:DWORD dst_unused:UNUSED_PAD src0_sel:DWORD src1_sel:WORD_1
	s_waitcnt lgkmcnt(1)
	v_lshrrev_b32_e32 v130, 16, v101
	s_waitcnt vmcnt(11)
	v_mul_f16_sdwa v131, v101, v109 dst_sel:DWORD dst_unused:UNUSED_PAD src0_sel:DWORD src1_sel:WORD_1
	v_lshrrev_b32_e32 v132, 16, v102
	v_mul_f16_sdwa v135, v122, v105 dst_sel:DWORD dst_unused:UNUSED_PAD src0_sel:DWORD src1_sel:WORD_1
	v_fma_f16 v122, v122, v105, v123
	v_mul_f16_sdwa v123, v124, v106 dst_sel:DWORD dst_unused:UNUSED_PAD src0_sel:DWORD src1_sel:WORD_1
	s_waitcnt vmcnt(10)
	v_mul_f16_sdwa v133, v102, v110 dst_sel:DWORD dst_unused:UNUSED_PAD src0_sel:DWORD src1_sel:WORD_1
	v_fma_f16 v124, v124, v106, v125
	v_mul_f16_sdwa v125, v126, v107 dst_sel:DWORD dst_unused:UNUSED_PAD src0_sel:DWORD src1_sel:WORD_1
	v_fma_f16 v126, v126, v107, v127
	;; [unrolled: 2-line block ×4, first 2 shown]
	v_mul_f16_sdwa v131, v132, v110 dst_sel:DWORD dst_unused:UNUSED_PAD src0_sel:DWORD src1_sel:WORD_1
	v_fma_f16 v80, v80, v105, -v135
	v_fma_f16 v81, v81, v106, -v123
	s_waitcnt lgkmcnt(0)
	v_lshrrev_b32_e32 v134, 16, v103
	v_fma_f16 v132, v132, v110, v133
	v_fma_f16 v99, v99, v107, -v125
	v_fma_f16 v100, v100, v108, -v127
	v_fma_f16 v101, v101, v109, -v129
	v_fma_f16 v102, v102, v110, -v131
	v_pack_b32_f16 v80, v80, v122
	v_pack_b32_f16 v81, v81, v124
	s_waitcnt vmcnt(9)
	v_mul_f16_sdwa v133, v134, v111 dst_sel:DWORD dst_unused:UNUSED_PAD src0_sel:DWORD src1_sel:WORD_1
	v_pack_b32_f16 v99, v99, v126
	v_pack_b32_f16 v100, v100, v128
	;; [unrolled: 1-line block ×4, first 2 shown]
	ds_write2_b32 v63, v80, v81 offset0:105 offset1:210
	ds_write2_b32 v118, v99, v100 offset0:59 offset1:164
	;; [unrolled: 1-line block ×3, first 2 shown]
	v_mul_f16_sdwa v81, v103, v111 dst_sel:DWORD dst_unused:UNUSED_PAD src0_sel:DWORD src1_sel:WORD_1
	v_fma_f16 v80, v103, v111, -v133
	v_fma_f16 v81, v134, v111, v81
	v_lshrrev_b32_e32 v100, 16, v104
	v_pack_b32_f16 v99, v80, v81
	s_waitcnt vmcnt(8)
	v_mul_f16_sdwa v80, v100, v112 dst_sel:DWORD dst_unused:UNUSED_PAD src0_sel:DWORD src1_sel:WORD_1
	v_add_u32_e32 v102, 0xe00, v63
	v_fma_f16 v101, v104, v112, -v80
	ds_read2_b32 v[80:81], v102 offset0:49 offset1:154
	v_mul_f16_sdwa v103, v104, v112 dst_sel:DWORD dst_unused:UNUSED_PAD src0_sel:DWORD src1_sel:WORD_1
	v_fma_f16 v100, v100, v112, v103
	v_pack_b32_f16 v100, v101, v100
	ds_write2_b32 v120, v99, v100 offset0:95 offset1:200
	s_waitcnt lgkmcnt(1)
	v_lshrrev_b32_e32 v99, 16, v80
	s_waitcnt vmcnt(1)
	v_mul_f16_sdwa v100, v99, v117 dst_sel:DWORD dst_unused:UNUSED_PAD src0_sel:DWORD src1_sel:WORD_1
	v_fma_f16 v100, v80, v117, -v100
	v_mul_f16_sdwa v80, v80, v117 dst_sel:DWORD dst_unused:UNUSED_PAD src0_sel:DWORD src1_sel:WORD_1
	v_lshrrev_b32_e32 v101, 16, v81
	v_fma_f16 v80, v99, v117, v80
	v_mul_f16_sdwa v99, v101, v41 dst_sel:DWORD dst_unused:UNUSED_PAD src0_sel:DWORD src1_sel:WORD_1
	v_add_u32_e32 v104, 0x1000, v63
	v_pack_b32_f16 v80, v100, v80
	v_fma_f16 v103, v81, v41, -v99
	ds_read2_b32 v[99:100], v104 offset0:131 offset1:236
	v_mul_f16_sdwa v81, v81, v41 dst_sel:DWORD dst_unused:UNUSED_PAD src0_sel:DWORD src1_sel:WORD_1
	v_fma_f16 v41, v101, v41, v81
	v_pack_b32_f16 v41, v103, v41
	ds_write2_b32 v102, v80, v41 offset0:49 offset1:154
	s_waitcnt lgkmcnt(1)
	v_lshrrev_b32_e32 v41, 16, v99
	v_mul_f16_sdwa v80, v41, v46 dst_sel:DWORD dst_unused:UNUSED_PAD src0_sel:DWORD src1_sel:WORD_1
	v_mul_f16_sdwa v81, v99, v46 dst_sel:DWORD dst_unused:UNUSED_PAD src0_sel:DWORD src1_sel:WORD_1
	v_fma_f16 v80, v99, v46, -v80
	v_fma_f16 v41, v41, v46, v81
	v_lshrrev_b32_e32 v46, 16, v100
	v_pack_b32_f16 v41, v80, v41
	v_mul_f16_sdwa v80, v46, v113 dst_sel:DWORD dst_unused:UNUSED_PAD src0_sel:DWORD src1_sel:WORD_1
	v_add_u32_e32 v101, 0x1400, v63
	v_fma_f16 v99, v100, v113, -v80
	ds_read2_b32 v[80:81], v101 offset0:85 offset1:190
	v_mul_f16_sdwa v100, v100, v113 dst_sel:DWORD dst_unused:UNUSED_PAD src0_sel:DWORD src1_sel:WORD_1
	v_fma_f16 v46, v46, v113, v100
	v_pack_b32_f16 v46, v99, v46
	ds_write2_b32 v104, v41, v46 offset0:131 offset1:236
	s_waitcnt lgkmcnt(1)
	v_lshrrev_b32_e32 v41, 16, v80
	v_mul_f16_sdwa v46, v41, v114 dst_sel:DWORD dst_unused:UNUSED_PAD src0_sel:DWORD src1_sel:WORD_1
	v_fma_f16 v46, v80, v114, -v46
	v_mul_f16_sdwa v80, v80, v114 dst_sel:DWORD dst_unused:UNUSED_PAD src0_sel:DWORD src1_sel:WORD_1
	v_fma_f16 v41, v41, v114, v80
	v_add_u32_e32 v102, 0x1800, v63
	v_pack_b32_f16 v41, v46, v41
	v_lshrrev_b32_e32 v46, 16, v81
	ds_read2_b32 v[99:100], v102 offset0:39 offset1:144
	v_mul_f16_sdwa v80, v46, v115 dst_sel:DWORD dst_unused:UNUSED_PAD src0_sel:DWORD src1_sel:WORD_1
	v_fma_f16 v80, v81, v115, -v80
	v_mul_f16_sdwa v81, v81, v115 dst_sel:DWORD dst_unused:UNUSED_PAD src0_sel:DWORD src1_sel:WORD_1
	v_fma_f16 v46, v46, v115, v81
	v_pack_b32_f16 v46, v80, v46
	ds_write2_b32 v101, v41, v46 offset0:85 offset1:190
	s_waitcnt lgkmcnt(1)
	v_lshrrev_b32_e32 v41, 16, v99
	v_mul_f16_sdwa v46, v41, v116 dst_sel:DWORD dst_unused:UNUSED_PAD src0_sel:DWORD src1_sel:WORD_1
	v_mul_f16_sdwa v80, v99, v116 dst_sel:DWORD dst_unused:UNUSED_PAD src0_sel:DWORD src1_sel:WORD_1
	v_fma_f16 v46, v99, v116, -v46
	v_fma_f16 v41, v41, v116, v80
	v_pack_b32_f16 v41, v46, v41
	v_lshrrev_b32_e32 v46, 16, v100
	s_waitcnt vmcnt(0)
	v_mul_f16_sdwa v80, v46, v121 dst_sel:DWORD dst_unused:UNUSED_PAD src0_sel:DWORD src1_sel:WORD_1
	v_mul_f16_sdwa v81, v100, v121 dst_sel:DWORD dst_unused:UNUSED_PAD src0_sel:DWORD src1_sel:WORD_1
	v_fma_f16 v80, v100, v121, -v80
	v_fma_f16 v46, v46, v121, v81
	v_pack_b32_f16 v46, v80, v46
	ds_write2_b32 v102, v41, v46 offset0:39 offset1:144
.LBB0_13:
	s_or_b64 exec, exec, s[4:5]
	s_waitcnt lgkmcnt(0)
	s_barrier
	s_and_saveexec_b64 s[4:5], s[0:1]
	s_cbranch_execz .LBB0_15
; %bb.14:
	v_add_u32_e32 v41, 0x200, v66
	ds_read2_b32 v[49:50], v41 offset0:82 offset1:187
	v_add_u32_e32 v41, 0x600, v66
	ds_read2_b32 v[51:52], v41 offset0:36 offset1:141
	;; [unrolled: 2-line block ×6, first 2 shown]
	v_add_u32_e32 v41, 0x1600, v66
	ds_read2_b32 v[47:48], v66 offset1:105
	ds_read2_b32 v[61:62], v41 offset0:62 offset1:167
	ds_read_b32 v98, v66 offset:6720
	s_waitcnt lgkmcnt(8)
	v_lshrrev_b32_e32 v83, 16, v49
	v_lshrrev_b32_e32 v84, 16, v50
	s_waitcnt lgkmcnt(2)
	v_lshrrev_b32_e32 v45, 16, v47
	v_lshrrev_b32_e32 v82, 16, v48
	;; [unrolled: 1-line block ×12, first 2 shown]
	s_waitcnt lgkmcnt(1)
	v_lshrrev_b32_e32 v95, 16, v61
	v_lshrrev_b32_e32 v96, 16, v62
	s_waitcnt lgkmcnt(0)
	v_lshrrev_b32_e32 v97, 16, v98
.LBB0_15:
	s_or_b64 exec, exec, s[4:5]
	v_sub_f16_e32 v139, v82, v97
	v_add_f16_e32 v99, v98, v48
	v_add_f16_e32 v131, v97, v82
	s_movk_i32 s14, 0x3b76
	v_mul_f16_e32 v114, 0xb5c8, v139
	v_sub_f16_e32 v146, v83, v96
	v_sub_f16_e32 v100, v48, v98
	s_mov_b32 s19, 0xb5c8
	v_mul_f16_e32 v117, 0x3b76, v131
	v_fma_f16 v41, v99, s14, -v114
	s_movk_i32 s15, 0x39e9
	v_add_f16_e32 v101, v62, v49
	v_add_f16_e32 v136, v96, v83
	v_mul_f16_e32 v116, 0xb964, v146
	v_add_f16_e32 v41, v47, v41
	v_fma_f16 v46, v100, s19, v117
	s_mov_b32 s35, 0xb964
	v_mul_f16_e32 v120, 0xb964, v139
	v_sub_f16_e32 v103, v49, v62
	v_mul_f16_e32 v118, 0x39e9, v136
	v_fma_f16 v102, v101, s15, -v116
	v_add_f16_e32 v46, v45, v46
	v_mul_f16_e32 v125, 0x39e9, v131
	v_fma_f16 v80, v99, s15, -v120
	v_add_f16_e32 v41, v102, v41
	v_fma_f16 v102, v103, s35, v118
	s_movk_i32 s16, 0x2de8
	v_mul_f16_e32 v124, 0xbbf7, v146
	v_add_f16_e32 v80, v47, v80
	v_fma_f16 v81, v100, s35, v125
	v_add_f16_e32 v46, v102, v46
	s_mov_b32 s20, 0xbbf7
	v_mul_f16_e32 v129, 0x2de8, v136
	v_fma_f16 v102, v101, s16, -v124
	v_add_f16_e32 v81, v45, v81
	v_add_f16_e32 v80, v102, v80
	v_fma_f16 v102, v103, s20, v129
	v_sub_f16_e32 v151, v84, v95
	v_add_f16_e32 v81, v102, v81
	v_add_f16_e32 v102, v61, v50
	v_add_f16_e32 v143, v95, v84
	s_movk_i32 s17, 0x3722
	v_mul_f16_e32 v119, 0xbb29, v151
	v_sub_f16_e32 v104, v50, v61
	s_mov_b32 s21, 0xbb29
	v_mul_f16_e32 v123, 0x3722, v143
	v_fma_f16 v105, v102, s17, -v119
	v_add_f16_e32 v41, v105, v41
	v_fma_f16 v105, v104, s21, v123
	s_mov_b32 s18, 0xb8d2
	v_mul_f16_e32 v130, 0xba62, v151
	v_add_f16_e32 v46, v105, v46
	s_mov_b32 s26, 0xba62
	v_mul_f16_e32 v135, 0xb8d2, v143
	v_fma_f16 v105, v102, s18, -v130
	v_add_f16_e32 v80, v105, v80
	v_fma_f16 v105, v104, s26, v135
	v_sub_f16_e32 v155, v85, v94
	v_add_f16_e32 v81, v105, v81
	v_add_f16_e32 v105, v60, v51
	;; [unrolled: 1-line block ×3, first 2 shown]
	v_mul_f16_e32 v122, 0xbbf7, v155
	v_sub_f16_e32 v107, v51, v60
	v_mul_f16_e32 v127, 0x2de8, v149
	v_fma_f16 v106, v105, s16, -v122
	v_add_f16_e32 v41, v106, v41
	v_fma_f16 v106, v107, s20, v127
	s_mov_b32 s22, 0xbbdd
	v_mul_f16_e32 v134, 0xb1e1, v155
	v_add_f16_e32 v46, v106, v46
	s_mov_b32 s25, 0xb1e1
	v_mul_f16_e32 v141, 0xbbdd, v149
	v_fma_f16 v106, v105, s22, -v134
	v_add_f16_e32 v80, v106, v80
	v_fma_f16 v106, v107, s25, v141
	v_sub_f16_e32 v159, v86, v93
	v_add_f16_e32 v81, v106, v81
	v_add_f16_e32 v106, v59, v52
	v_add_f16_e32 v154, v93, v86
	s_mov_b32 s23, 0xb461
	v_mul_f16_e32 v128, 0xbbb2, v159
	v_sub_f16_e32 v108, v52, v59
	s_mov_b32 s29, 0xbbb2
	v_mul_f16_e32 v133, 0xb461, v154
	v_fma_f16 v109, v106, s23, -v128
	v_add_f16_e32 v41, v109, v41
	v_fma_f16 v109, v108, s29, v133
	s_mov_b32 s24, 0xbacd
	v_mul_f16_e32 v142, 0x3836, v159
	v_add_f16_e32 v46, v109, v46
	s_movk_i32 s30, 0x3836
	v_mul_f16_e32 v148, 0xbacd, v154
	v_fma_f16 v109, v106, s24, -v142
	v_add_f16_e32 v80, v109, v80
	v_fma_f16 v109, v108, s30, v148
	v_sub_f16_e32 v162, v87, v92
	v_add_f16_e32 v81, v109, v81
	v_add_f16_e32 v109, v58, v53
	v_add_f16_e32 v158, v92, v87
	v_mul_f16_e32 v132, 0xba62, v162
	v_sub_f16_e32 v111, v53, v58
	v_mul_f16_e32 v140, 0xb8d2, v158
	v_fma_f16 v110, v109, s18, -v132
	v_add_f16_e32 v41, v110, v41
	v_fma_f16 v110, v111, s26, v140
	v_mul_f16_e32 v147, 0x3bb2, v162
	v_add_f16_e32 v46, v110, v46
	s_movk_i32 s27, 0x3bb2
	v_mul_f16_e32 v153, 0xb461, v158
	v_fma_f16 v110, v109, s23, -v147
	v_add_f16_e32 v80, v110, v80
	v_fma_f16 v110, v111, s27, v153
	v_sub_f16_e32 v164, v88, v91
	v_add_f16_e32 v81, v110, v81
	v_add_f16_e32 v110, v57, v54
	;; [unrolled: 1-line block ×3, first 2 shown]
	v_mul_f16_e32 v138, 0xb836, v164
	v_sub_f16_e32 v113, v54, v57
	s_mov_b32 s28, 0xb836
	v_mul_f16_e32 v145, 0xbacd, v161
	v_fma_f16 v112, v110, s24, -v138
	v_add_f16_e32 v41, v112, v41
	v_fma_f16 v112, v113, s28, v145
	v_mul_f16_e32 v152, 0x3b29, v164
	v_add_f16_e32 v46, v112, v46
	s_movk_i32 s33, 0x3b29
	v_mul_f16_e32 v157, 0x3722, v161
	v_fma_f16 v112, v110, s17, -v152
	v_sub_f16_e32 v165, v89, v90
	v_add_f16_e32 v121, v112, v80
	v_fma_f16 v80, v113, s33, v157
	v_add_f16_e32 v112, v56, v55
	v_add_f16_e32 v163, v90, v89
	v_mul_f16_e32 v144, 0xb1e1, v165
	v_add_f16_e32 v81, v80, v81
	v_sub_f16_e32 v115, v55, v56
	v_mul_f16_e32 v150, 0xbbdd, v163
	v_fma_f16 v80, v112, s22, -v144
	v_add_f16_e32 v41, v80, v41
	v_fma_f16 v80, v115, s25, v150
	v_mul_f16_e32 v156, 0x35c8, v165
	v_add_f16_e32 v80, v80, v46
	s_movk_i32 s31, 0x35c8
	v_mul_f16_e32 v160, 0x3b76, v163
	v_fma_f16 v46, v112, s14, -v156
	v_add_f16_e32 v46, v46, v121
	v_fma_f16 v121, v115, s31, v160
	v_add_f16_e32 v81, v121, v81
	s_barrier
	s_and_saveexec_b64 s[4:5], s[0:1]
	s_cbranch_execz .LBB0_17
; %bb.16:
	v_mul_f16_e32 v198, 0xbb29, v100
	v_fma_f16 v121, v131, s17, v198
	v_mul_f16_e32 v199, 0xba62, v103
	v_add_f16_e32 v121, v45, v121
	v_fma_f16 v126, v136, s18, v199
	v_mul_f16_e32 v200, 0x31e1, v104
	v_add_f16_e32 v121, v126, v121
	;; [unrolled: 3-line block ×8, first 2 shown]
	v_fma_f16 v126, v99, s17, -v206
	v_mul_f16_e32 v207, 0xba62, v146
	v_add_f16_e32 v126, v47, v126
	buffer_store_dword v137, off, s[40:43], 0 ; 4-byte Folded Spill
	v_fma_f16 v137, v101, s18, -v207
	v_mul_f16_e32 v208, 0x31e1, v151
	v_add_f16_e32 v126, v137, v126
	v_fma_f16 v137, v102, s22, -v208
	v_mul_f16_e32 v209, 0x3bb2, v155
	v_add_f16_e32 v126, v137, v126
	;; [unrolled: 3-line block ×6, first 2 shown]
	v_fma_f16 v137, v112, s24, -v213
	v_mul_f16_e32 v214, 0xba62, v100
	buffer_store_dword v65, off, s[40:43], 0 offset:4 ; 4-byte Folded Spill
	v_add_f16_e32 v65, v137, v126
	v_fma_f16 v137, v131, s18, v214
	v_mul_f16_e32 v215, 0x3bb2, v103
	v_add_f16_e32 v137, v45, v137
	v_fma_f16 v216, v136, s23, v215
	v_add_f16_e32 v137, v216, v137
	v_mul_f16_e32 v216, 0xb5c8, v104
	v_fma_f16 v217, v143, s14, v216
	v_add_f16_e32 v137, v217, v137
	v_mul_f16_e32 v217, 0xb836, v107
	;; [unrolled: 3-line block ×6, first 2 shown]
	v_fma_f16 v222, v163, s17, v221
	buffer_store_dword v65, off, s[40:43], 0 offset:8 ; 4-byte Folded Spill
	v_add_f16_e32 v65, v222, v137
	v_mul_f16_e32 v222, 0xba62, v139
	v_fma_f16 v223, v99, s18, -v222
	v_mul_f16_e32 v224, 0x3bb2, v146
	v_add_f16_e32 v223, v47, v223
	v_fma_f16 v225, v101, s23, -v224
	v_add_f16_e32 v223, v225, v223
	v_mul_f16_e32 v225, 0xb5c8, v151
	v_fma_f16 v226, v102, s14, -v225
	v_add_f16_e32 v223, v226, v223
	v_mul_f16_e32 v226, 0xb836, v155
	;; [unrolled: 3-line block ×6, first 2 shown]
	v_fma_f16 v231, v112, s17, -v230
	buffer_store_dword v65, off, s[40:43], 0 offset:12 ; 4-byte Folded Spill
	v_add_f16_e32 v65, v231, v223
	v_mul_f16_e32 v231, 0xb1e1, v100
	v_fma_f16 v232, v131, s22, v231
	v_mul_f16_e32 v233, 0x35c8, v103
	v_add_f16_e32 v232, v45, v232
	v_fma_f16 v234, v136, s14, v233
	v_add_f16_e32 v232, v234, v232
	v_mul_f16_e32 v234, 0xb836, v104
	v_fma_f16 v235, v143, s24, v234
	v_add_f16_e32 v232, v235, v232
	v_mul_f16_e32 v235, 0x3964, v107
	;; [unrolled: 3-line block ×6, first 2 shown]
	v_fma_f16 v240, v163, s16, v239
	v_fma_f16 v231, v131, s22, -v231
	buffer_store_dword v65, off, s[40:43], 0 offset:16 ; 4-byte Folded Spill
	v_add_f16_e32 v65, v240, v232
	v_mul_f16_e32 v240, 0xb1e1, v139
	v_add_f16_e32 v231, v45, v231
	v_fma_f16 v233, v136, s14, -v233
	v_fma_f16 v241, v99, s22, -v240
	v_mul_f16_e32 v242, 0x35c8, v146
	v_add_f16_e32 v231, v233, v231
	v_fma_f16 v233, v143, s24, -v234
	v_add_f16_e32 v241, v47, v241
	v_fma_f16 v243, v101, s14, -v242
	;; [unrolled: 2-line block ×3, first 2 shown]
	v_add_f16_e32 v241, v243, v241
	v_mul_f16_e32 v243, 0xb836, v151
	v_add_f16_e32 v231, v233, v231
	v_fma_f16 v233, v154, s18, -v236
	v_fma_f16 v244, v102, s24, -v243
	v_add_f16_e32 v231, v233, v231
	v_fma_f16 v233, v158, s17, -v237
	v_add_f16_e32 v241, v244, v241
	v_mul_f16_e32 v244, 0x3964, v155
	v_add_f16_e32 v231, v233, v231
	v_fma_f16 v233, v161, s23, -v238
	v_fma_f16 v245, v105, s15, -v244
	v_add_f16_e32 v231, v233, v231
	v_fma_f16 v233, v163, s16, -v239
	v_add_f16_e32 v241, v245, v241
	v_mul_f16_e32 v245, 0xba62, v159
	v_add_f16_e32 v231, v233, v231
	v_fma_f16 v233, v99, s22, v240
	v_fma_f16 v246, v106, s18, -v245
	v_add_f16_e32 v233, v47, v233
	v_fma_f16 v234, v101, s14, v242
	v_fma_f16 v214, v131, s18, -v214
	v_add_f16_e32 v241, v246, v241
	v_mul_f16_e32 v246, 0x3b29, v162
	v_add_f16_e32 v233, v234, v233
	v_fma_f16 v234, v102, s24, v243
	v_add_f16_e32 v214, v45, v214
	v_fma_f16 v215, v136, s23, -v215
	v_fma_f16 v247, v109, s17, -v246
	v_add_f16_e32 v233, v234, v233
	v_fma_f16 v234, v105, s15, v244
	v_add_f16_e32 v214, v215, v214
	v_fma_f16 v215, v143, s14, -v216
	v_add_f16_e32 v241, v247, v241
	v_mul_f16_e32 v247, 0xbbb2, v164
	v_add_f16_e32 v233, v234, v233
	v_fma_f16 v234, v106, s18, v245
	v_add_f16_e32 v214, v215, v214
	v_fma_f16 v215, v149, s24, -v217
	v_fma_f16 v248, v110, s23, -v247
	v_add_f16_e32 v233, v234, v233
	v_fma_f16 v234, v109, s17, v246
	v_add_f16_e32 v214, v215, v214
	v_fma_f16 v215, v154, s16, -v218
	v_add_f16_e32 v241, v248, v241
	v_mul_f16_e32 v248, 0x3bf7, v165
	v_add_f16_e32 v233, v234, v233
	v_fma_f16 v234, v110, s23, v247
	v_add_f16_e32 v214, v215, v214
	v_fma_f16 v215, v158, s15, -v219
	v_add_f16_e32 v233, v234, v233
	v_fma_f16 v234, v112, s16, v248
	v_add_f16_e32 v214, v215, v214
	v_fma_f16 v215, v161, s22, -v220
	v_add_f16_e32 v233, v234, v233
	v_mul_f16_e32 v234, 0xbacd, v131
	v_add_f16_e32 v214, v215, v214
	v_fma_f16 v215, v163, s17, -v221
	v_fma_f16 v235, v100, s30, v234
	v_mul_f16_e32 v236, 0x3722, v136
	v_add_f16_e32 v214, v215, v214
	v_fma_f16 v215, v99, s18, v222
	v_add_f16_e32 v235, v45, v235
	v_fma_f16 v237, v103, s21, v236
	;; [unrolled: 2-line block ×3, first 2 shown]
	s_movk_i32 s36, 0x3bf7
	v_add_f16_e32 v235, v237, v235
	v_mul_f16_e32 v237, 0x2de8, v143
	v_add_f16_e32 v215, v216, v215
	v_fma_f16 v216, v102, s14, v225
	v_fma_f16 v238, v104, s36, v237
	v_add_f16_e32 v215, v216, v215
	v_fma_f16 v216, v105, s24, v226
	v_add_f16_e32 v235, v238, v235
	v_mul_f16_e32 v238, 0xb8d2, v149
	v_add_f16_e32 v215, v216, v215
	v_fma_f16 v216, v106, s16, v227
	v_fma_f16 v239, v107, s26, v238
	v_add_f16_e32 v215, v216, v215
	v_fma_f16 v216, v109, s15, v228
	;; [unrolled: 7-line block ×3, first 2 shown]
	s_movk_i32 s38, 0x31e1
	v_add_f16_e32 v235, v240, v235
	v_mul_f16_e32 v240, 0xbbdd, v158
	v_add_f16_e32 v215, v216, v215
	v_mul_f16_e32 v216, 0xb461, v131
	v_fma_f16 v242, v111, s38, v240
	v_fma_f16 v217, v100, s27, v216
	v_mul_f16_e32 v218, 0xbacd, v136
	v_add_f16_e32 v235, v242, v235
	v_mul_f16_e32 v242, 0x39e9, v161
	v_add_f16_e32 v217, v45, v217
	v_fma_f16 v219, v103, s28, v218
	v_fma_f16 v243, v113, s35, v242
	v_add_f16_e32 v217, v219, v217
	v_mul_f16_e32 v219, 0x39e9, v143
	v_add_f16_e32 v235, v243, v235
	v_mul_f16_e32 v243, 0xb461, v163
	v_fma_f16 v220, v104, s35, v219
	v_add_f16_e32 v48, v48, v47
	v_fma_f16 v244, v115, s27, v243
	v_add_f16_e32 v217, v220, v217
	v_mul_f16_e32 v220, 0x3722, v149
	v_add_f16_e32 v48, v49, v48
	v_add_f16_e32 v235, v244, v235
	v_mul_f16_e32 v244, 0xb836, v139
	v_fma_f16 v221, v107, s33, v220
	v_add_f16_e32 v48, v50, v48
	v_fma_f16 v50, v100, s28, v234
	v_fma_f16 v245, v99, s24, v244
	v_mul_f16_e32 v246, 0x3b29, v146
	v_add_f16_e32 v217, v221, v217
	v_mul_f16_e32 v221, 0xbbdd, v154
	v_add_f16_e32 v48, v51, v48
	v_add_f16_e32 v50, v45, v50
	v_fma_f16 v51, v103, s33, v236
	v_add_f16_e32 v245, v47, v245
	v_fma_f16 v247, v101, s17, v246
	s_movk_i32 s37, 0x3a62
	v_fma_f16 v222, v108, s38, v221
	v_add_f16_e32 v50, v51, v50
	v_fma_f16 v51, v104, s20, v237
	v_add_f16_e32 v245, v247, v245
	v_mul_f16_e32 v247, 0xbbf7, v151
	v_add_f16_e32 v217, v222, v217
	v_mul_f16_e32 v222, 0x2de8, v158
	v_add_f16_e32 v50, v51, v50
	v_fma_f16 v51, v107, s37, v238
	v_fma_f16 v249, v112, s16, -v248
	v_fma_f16 v248, v102, s16, v247
	v_fma_f16 v224, v111, s20, v222
	v_add_f16_e32 v50, v51, v50
	v_fma_f16 v51, v108, s19, v239
	s_movk_i32 s34, 0x3964
	v_add_f16_e32 v245, v248, v245
	v_mul_f16_e32 v248, 0x3a62, v155
	v_add_f16_e32 v217, v224, v217
	v_mul_f16_e32 v224, 0x3b76, v161
	v_add_f16_e32 v50, v51, v50
	v_fma_f16 v51, v111, s25, v240
	v_add_f16_e32 v241, v249, v241
	v_fma_f16 v249, v105, s18, v248
	v_fma_f16 v225, v113, s31, v224
	v_add_f16_e32 v50, v51, v50
	v_fma_f16 v51, v113, s34, v242
	v_add_f16_e32 v245, v249, v245
	v_mul_f16_e32 v249, 0xb5c8, v159
	v_add_f16_e32 v217, v225, v217
	v_mul_f16_e32 v225, 0xb8d2, v163
	v_add_f16_e32 v50, v51, v50
	v_fma_f16 v51, v115, s29, v243
	v_fma_f16 v250, v106, s14, v249
	;; [unrolled: 1-line block ×3, first 2 shown]
	v_add_f16_e32 v50, v51, v50
	v_fma_f16 v51, v99, s24, -v244
	v_add_f16_e32 v245, v250, v245
	v_mul_f16_e32 v250, 0xb1e1, v162
	v_add_f16_e32 v217, v226, v217
	v_mul_f16_e32 v226, 0xbbb2, v139
	v_add_f16_e32 v48, v52, v48
	v_add_f16_e32 v51, v47, v51
	v_fma_f16 v52, v101, s17, -v246
	v_fma_f16 v251, v109, s22, v250
	v_fma_f16 v227, v99, s23, v226
	v_mul_f16_e32 v228, 0x3836, v146
	v_add_f16_e32 v51, v52, v51
	v_fma_f16 v52, v102, s16, -v247
	v_add_f16_e32 v245, v251, v245
	v_mul_f16_e32 v251, 0x3964, v164
	v_add_f16_e32 v227, v47, v227
	v_fma_f16 v229, v101, s24, v228
	v_add_f16_e32 v51, v52, v51
	v_fma_f16 v52, v105, s18, -v248
	v_fma_f16 v252, v110, s15, v251
	v_add_f16_e32 v227, v229, v227
	v_mul_f16_e32 v229, 0x3964, v151
	v_add_f16_e32 v51, v52, v51
	v_fma_f16 v52, v106, s14, -v249
	v_add_f16_e32 v245, v252, v245
	v_mul_f16_e32 v252, 0xbbb2, v165
	v_fma_f16 v230, v102, s15, v229
	v_add_f16_e32 v51, v52, v51
	v_fma_f16 v52, v109, s22, -v250
	v_fma_f16 v253, v112, s23, v252
	v_add_f16_e32 v227, v230, v227
	v_mul_f16_e32 v230, 0xbb29, v155
	v_add_f16_e32 v51, v52, v51
	v_fma_f16 v52, v110, s15, -v251
	v_add_f16_e32 v245, v253, v245
	v_fma_f16 v253, v105, s17, v230
	v_add_f16_e32 v51, v52, v51
	v_fma_f16 v52, v112, s23, -v252
	v_add_f16_e32 v227, v253, v227
	v_mul_f16_e32 v253, 0xb1e1, v159
	v_add_f16_e32 v51, v52, v51
	v_fma_f16 v52, v100, s29, v216
	v_fma_f16 v254, v106, s22, v253
	v_add_f16_e32 v48, v53, v48
	v_add_f16_e32 v52, v45, v52
	v_fma_f16 v53, v103, s30, v218
	v_add_f16_e32 v227, v254, v227
	v_mul_f16_e32 v254, 0x3bf7, v162
	v_add_f16_e32 v52, v53, v52
	v_fma_f16 v53, v104, s34, v219
	v_fma_f16 v255, v109, s16, v254
	v_add_f16_e32 v52, v53, v52
	v_fma_f16 v53, v107, s21, v220
	v_add_f16_e32 v227, v255, v227
	v_mul_f16_e32 v255, 0xb5c8, v164
	v_add_f16_e32 v52, v53, v52
	v_fma_f16 v53, v108, s25, v221
	buffer_store_dword v65, off, s[40:43], 0 offset:20 ; 4-byte Folded Spill
	v_fma_f16 v65, v110, s14, v255
	v_add_f16_e32 v52, v53, v52
	v_fma_f16 v53, v111, s36, v222
	v_add_f16_e32 v65, v65, v227
	v_mul_f16_e32 v227, 0xba62, v165
	v_add_f16_e32 v52, v53, v52
	v_fma_f16 v53, v113, s19, v224
	v_fma_f16 v121, v112, s18, v227
	v_add_f16_e32 v52, v53, v52
	v_fma_f16 v53, v115, s26, v225
	v_add_f16_e32 v65, v121, v65
	v_mul_f16_e32 v121, 0x2de8, v131
	v_add_f16_e32 v52, v53, v52
	v_fma_f16 v53, v99, s23, -v226
	v_mul_f16_e32 v186, 0xb5c8, v100
	v_fma_f16 v126, v100, s36, v121
	v_mov_b32_e32 v75, v24
	v_mul_f16_e32 v24, 0xbbdd, v136
	v_add_f16_e32 v48, v54, v48
	v_add_f16_e32 v53, v47, v53
	v_fma_f16 v54, v101, s24, -v228
	v_mul_f16_e32 v182, 0xb964, v103
	v_add_f16_e32 v126, v45, v126
	v_fma_f16 v137, v103, s38, v24
	v_sub_f16_e32 v117, v117, v186
	v_add_f16_e32 v53, v54, v53
	v_fma_f16 v54, v102, s15, -v229
	v_mul_f16_e32 v178, 0xbb29, v104
	v_add_f16_e32 v126, v137, v126
	v_mul_f16_e32 v137, 0xb461, v143
	v_add_f16_e32 v117, v45, v117
	v_sub_f16_e32 v118, v118, v182
	v_add_f16_e32 v53, v54, v53
	v_fma_f16 v54, v105, s17, -v230
	v_mul_f16_e32 v179, 0xbbf7, v107
	v_fma_f16 v223, v104, s29, v137
	v_add_f16_e32 v117, v118, v117
	v_sub_f16_e32 v118, v123, v178
	v_add_f16_e32 v53, v54, v53
	v_fma_f16 v54, v106, s22, -v253
	v_mul_f16_e32 v183, 0xbbb2, v108
	v_add_f16_e32 v126, v223, v126
	v_mul_f16_e32 v223, 0x3b76, v149
	v_add_f16_e32 v117, v118, v117
	v_sub_f16_e32 v118, v127, v179
	v_add_f16_e32 v53, v54, v53
	v_fma_f16 v54, v109, s16, -v254
	v_mul_f16_e32 v187, 0xba62, v111
	v_fma_f16 v67, v107, s19, v223
	v_add_f16_e32 v117, v118, v117
	v_sub_f16_e32 v118, v133, v183
	v_add_f16_e32 v53, v54, v53
	v_fma_f16 v54, v110, s14, -v255
	v_mov_b32_e32 v171, v170
	v_mov_b32_e32 v170, v168
	v_mul_f16_e32 v168, 0xb964, v100
	v_mul_f16_e32 v191, 0xb836, v113
	v_add_f16_e32 v67, v67, v126
	v_mul_f16_e32 v126, 0x3722, v154
	v_add_f16_e32 v117, v118, v117
	v_sub_f16_e32 v118, v140, v187
	v_add_f16_e32 v53, v54, v53
	v_fma_f16 v54, v112, s18, -v227
	v_mul_f16_e32 v195, 0xb1e1, v115
	v_fma_f16 v68, v108, s33, v126
	v_fma_f16 v131, v131, s17, -v198
	v_sub_f16_e32 v125, v125, v168
	v_add_f16_e32 v117, v118, v117
	v_sub_f16_e32 v118, v145, v191
	v_add_f16_e32 v49, v82, v45
	v_add_f16_e32 v53, v54, v53
	v_fma_f16 v54, v100, s20, v121
	v_add_f16_e32 v67, v68, v67
	v_mul_f16_e32 v68, 0xbacd, v158
	v_add_f16_e32 v131, v45, v131
	v_fma_f16 v136, v136, s18, -v199
	v_add_f16_e32 v125, v45, v125
	v_add_f16_e32 v117, v118, v117
	v_sub_f16_e32 v118, v150, v195
	v_add_f16_e32 v49, v83, v49
	v_add_f16_e32 v45, v45, v54
	v_fma_f16 v24, v103, s25, v24
	v_fma_f16 v69, v111, s30, v68
	v_add_f16_e32 v131, v136, v131
	v_fma_f16 v136, v143, s22, -v200
	v_add_f16_e32 v117, v118, v117
	v_mul_f16_e32 v118, 0x3b76, v99
	v_add_f16_e32 v49, v84, v49
	v_add_f16_e32 v24, v24, v45
	v_fma_f16 v45, v104, s27, v137
	v_add_f16_e32 v67, v69, v67
	v_mul_f16_e32 v69, 0xb8d2, v161
	v_add_f16_e32 v131, v136, v131
	v_fma_f16 v136, v149, s23, -v201
	v_add_f16_e32 v114, v118, v114
	v_mul_f16_e32 v118, 0x39e9, v101
	v_add_f16_e32 v49, v85, v49
	v_add_f16_e32 v24, v45, v24
	v_fma_f16 v45, v107, s31, v223
	v_fma_f16 v70, v113, s26, v69
	v_add_f16_e32 v131, v136, v131
	v_fma_f16 v136, v154, s15, -v202
	v_add_f16_e32 v114, v47, v114
	v_add_f16_e32 v116, v118, v116
	;; [unrolled: 1-line block ×4, first 2 shown]
	v_fma_f16 v45, v108, s21, v126
	v_add_f16_e32 v67, v70, v67
	v_mul_f16_e32 v70, 0x39e9, v163
	v_add_f16_e32 v131, v136, v131
	v_fma_f16 v136, v158, s14, -v203
	v_add_f16_e32 v114, v116, v114
	v_mul_f16_e32 v116, 0x3722, v102
	v_add_f16_e32 v49, v87, v49
	v_add_f16_e32 v24, v45, v24
	v_fma_f16 v45, v111, s28, v68
	v_fma_f16 v71, v115, s35, v70
	v_add_f16_e32 v131, v136, v131
	v_fma_f16 v136, v161, s16, -v204
	v_add_f16_e32 v116, v116, v119
	v_add_f16_e32 v49, v88, v49
	;; [unrolled: 1-line block ×3, first 2 shown]
	v_fma_f16 v45, v113, s37, v69
	v_mul_f16_e32 v175, 0x39e9, v99
	v_add_f16_e32 v67, v71, v67
	v_mul_f16_e32 v71, 0xbbf7, v139
	v_add_f16_e32 v131, v136, v131
	v_fma_f16 v136, v163, s24, -v205
	v_add_f16_e32 v114, v116, v114
	v_mul_f16_e32 v116, 0x2de8, v105
	v_add_f16_e32 v48, v55, v48
	v_add_f16_e32 v49, v89, v49
	;; [unrolled: 1-line block ×3, first 2 shown]
	v_fma_f16 v45, v115, s34, v70
	v_mul_f16_e32 v174, 0x2de8, v101
	v_mul_f16_e32 v173, 0xbbf7, v103
	v_fma_f16 v139, v99, s16, v71
	v_mul_f16_e32 v146, 0xb1e1, v146
	v_add_f16_e32 v131, v136, v131
	v_fma_f16 v136, v99, s17, v206
	v_add_f16_e32 v120, v175, v120
	v_add_f16_e32 v116, v116, v122
	;; [unrolled: 1-line block ×5, first 2 shown]
	v_fma_f16 v45, v99, s16, -v71
	v_mul_f16_e32 v176, 0xb8d2, v102
	v_mul_f16_e32 v177, 0xba62, v104
	v_add_f16_e32 v139, v47, v139
	v_mul_f16_e32 v151, 0x3bb2, v151
	v_add_f16_e32 v136, v47, v136
	v_fma_f16 v143, v101, s18, v207
	v_sub_f16_e32 v129, v129, v173
	v_add_f16_e32 v120, v47, v120
	v_add_f16_e32 v124, v174, v124
	;; [unrolled: 1-line block ×3, first 2 shown]
	v_mul_f16_e32 v116, 0xb461, v106
	v_add_f16_e32 v48, v57, v48
	v_add_f16_e32 v49, v91, v49
	;; [unrolled: 1-line block ×3, first 2 shown]
	v_fma_f16 v47, v101, s22, -v146
	v_mul_f16_e32 v180, 0xbbdd, v105
	v_mul_f16_e32 v181, 0xb1e1, v107
	v_fma_f16 v232, v101, s22, v146
	v_mul_f16_e32 v155, 0x35c8, v155
	v_add_f16_e32 v136, v143, v136
	v_fma_f16 v143, v102, s22, v208
	v_add_f16_e32 v125, v129, v125
	v_sub_f16_e32 v129, v135, v177
	v_add_f16_e32 v120, v124, v120
	v_add_f16_e32 v124, v176, v130
	;; [unrolled: 1-line block ×6, first 2 shown]
	v_fma_f16 v47, v102, s23, -v151
	v_mul_f16_e32 v184, 0xbacd, v106
	v_mul_f16_e32 v185, 0x3836, v108
	v_add_f16_e32 v139, v232, v139
	v_fma_f16 v232, v102, s23, v151
	v_mul_f16_e32 v159, 0xbb29, v159
	v_add_f16_e32 v136, v143, v136
	v_fma_f16 v143, v105, s23, v209
	v_add_f16_e32 v125, v129, v125
	v_sub_f16_e32 v129, v141, v181
	v_add_f16_e32 v120, v124, v120
	v_add_f16_e32 v124, v180, v134
	;; [unrolled: 1-line block ×3, first 2 shown]
	v_mul_f16_e32 v116, 0xb8d2, v109
	v_add_f16_e32 v48, v59, v48
	v_add_f16_e32 v49, v93, v49
	;; [unrolled: 1-line block ×3, first 2 shown]
	v_fma_f16 v47, v105, s14, -v155
	v_mul_f16_e32 v188, 0xb461, v109
	v_mul_f16_e32 v189, 0x3bb2, v111
	v_mul_f16_e32 v190, 0xbacd, v110
	v_add_f16_e32 v139, v232, v139
	v_fma_f16 v232, v105, s14, v155
	v_mul_f16_e32 v162, 0xb836, v162
	v_add_f16_e32 v136, v143, v136
	v_fma_f16 v143, v106, s15, v210
	v_add_f16_e32 v125, v129, v125
	v_sub_f16_e32 v129, v148, v185
	v_add_f16_e32 v120, v124, v120
	v_add_f16_e32 v124, v184, v142
	;; [unrolled: 1-line block ×6, first 2 shown]
	v_fma_f16 v47, v106, s17, -v159
	v_mul_f16_e32 v192, 0x3722, v110
	v_mul_f16_e32 v193, 0x3b29, v113
	;; [unrolled: 1-line block ×3, first 2 shown]
	v_add_f16_e32 v139, v232, v139
	v_fma_f16 v232, v106, s17, v159
	v_mul_f16_e32 v164, 0x3a62, v164
	v_add_f16_e32 v136, v143, v136
	v_fma_f16 v143, v109, s14, v211
	v_add_f16_e32 v125, v129, v125
	v_sub_f16_e32 v129, v153, v189
	v_add_f16_e32 v120, v124, v120
	v_add_f16_e32 v124, v188, v147
	;; [unrolled: 1-line block ×7, first 2 shown]
	v_fma_f16 v47, v109, s24, -v162
	v_mul_f16_e32 v196, 0x3b76, v112
	v_mul_f16_e32 v197, 0x35c8, v115
	v_add_f16_e32 v139, v232, v139
	v_fma_f16 v232, v109, s24, v162
	v_mul_f16_e32 v165, 0x3964, v165
	v_add_f16_e32 v136, v143, v136
	v_fma_f16 v143, v110, s16, v212
	v_add_f16_e32 v125, v129, v125
	v_sub_f16_e32 v129, v157, v193
	v_add_f16_e32 v120, v124, v120
	v_add_f16_e32 v124, v192, v152
	;; [unrolled: 1-line block ×7, first 2 shown]
	v_fma_f16 v47, v110, s18, -v164
	v_add_f16_e32 v139, v232, v139
	v_fma_f16 v232, v110, s18, v164
	v_add_f16_e32 v136, v143, v136
	v_fma_f16 v143, v112, s24, v213
	v_add_f16_e32 v125, v129, v125
	v_sub_f16_e32 v129, v160, v197
	v_add_f16_e32 v120, v124, v120
	v_add_f16_e32 v124, v196, v156
	;; [unrolled: 1-line block ×6, first 2 shown]
	v_fma_f16 v47, v112, s15, -v165
	v_add_f16_e32 v139, v232, v139
	v_fma_f16 v232, v112, s15, v165
	v_add_f16_e32 v136, v143, v136
	v_add_f16_e32 v125, v129, v125
	;; [unrolled: 1-line block ×4, first 2 shown]
	v_lshlrev_b32_e32 v47, 2, v75
	v_pack_b32_f16 v54, v114, v117
	v_pack_b32_f16 v48, v48, v49
	v_add_f16_e32 v139, v232, v139
	ds_write2_b32 v47, v48, v54 offset1:1
	v_pack_b32_f16 v48, v120, v125
	v_pack_b32_f16 v49, v136, v131
	ds_write2_b32 v47, v48, v49 offset0:2 offset1:3
	v_pack_b32_f16 v48, v65, v217
	v_pack_b32_f16 v49, v139, v67
	ds_write2_b32 v47, v49, v48 offset0:4 offset1:5
	v_pack_b32_f16 v48, v245, v235
	v_pack_b32_f16 v49, v215, v214
	buffer_load_dword v137, off, s[40:43], 0 ; 4-byte Folded Reload
	ds_write2_b32 v47, v49, v48 offset0:6 offset1:7
	buffer_load_dword v48, off, s[40:43], 0 offset:20 ; 4-byte Folded Reload
	v_pack_b32_f16 v49, v233, v231
	v_pack_b32_f16 v24, v45, v24
	v_pack_b32_f16 v45, v53, v52
	s_mov_b32 s14, 0x5040100
	v_mov_b32_e32 v168, v170
	v_mov_b32_e32 v170, v171
	s_waitcnt vmcnt(0)
	v_pack_b32_f16 v48, v241, v48
	ds_write2_b32 v47, v49, v48 offset0:8 offset1:9
	buffer_load_dword v48, off, s[40:43], 0 offset:12 ; 4-byte Folded Reload
	buffer_load_dword v49, off, s[40:43], 0 offset:16 ; 4-byte Folded Reload
	ds_write2_b32 v47, v45, v24 offset0:12 offset1:13
	s_waitcnt vmcnt(0)
	v_pack_b32_f16 v48, v49, v48
	v_pack_b32_f16 v49, v51, v50
	ds_write2_b32 v47, v49, v48 offset0:10 offset1:11
	buffer_load_dword v24, off, s[40:43], 0 offset:4 ; 4-byte Folded Reload
	buffer_load_dword v45, off, s[40:43], 0 offset:8 ; 4-byte Folded Reload
	s_waitcnt vmcnt(0)
	v_pack_b32_f16 v24, v45, v24
	v_perm_b32 v45, v81, v46, s14
	ds_write2_b32 v47, v24, v45 offset0:14 offset1:15
	v_perm_b32 v24, v80, v41, s14
	ds_write_b32 v47, v24 offset:64
.LBB0_17:
	s_or_b64 exec, exec, s[4:5]
	v_add_u32_e32 v48, 0x600, v66
	s_waitcnt lgkmcnt(0)
	s_barrier
	ds_read2_b32 v[55:56], v48 offset0:92 offset1:211
	v_add_u32_e32 v47, 0x1200, v66
	ds_read2_b32 v[57:58], v47 offset0:38 offset1:157
	v_add_u32_e32 v49, 0xa00, v66
	ds_read2_b32 v[59:60], v49 offset0:74 offset1:193
	s_waitcnt lgkmcnt(2)
	v_lshrrev_b32_e32 v45, 16, v56
	v_add_u32_e32 v50, 0x1600, v66
	v_mul_f16_sdwa v94, v27, v45 dst_sel:DWORD dst_unused:UNUSED_PAD src0_sel:WORD_1 src1_sel:DWORD
	s_waitcnt lgkmcnt(1)
	v_lshrrev_b32_e32 v65, 16, v57
	ds_read2_b32 v[82:83], v50 offset0:20 offset1:139
	v_add_u32_e32 v52, 0xe00, v66
	v_fma_f16 v94, v27, v56, v94
	v_mul_f16_sdwa v56, v27, v56 dst_sel:DWORD dst_unused:UNUSED_PAD src0_sel:WORD_1 src1_sel:DWORD
	s_waitcnt lgkmcnt(1)
	v_lshrrev_b32_e32 v68, 16, v59
	ds_read2_b32 v[84:85], v52 offset0:56 offset1:175
	v_fma_f16 v27, v27, v45, -v56
	v_mul_f16_sdwa v45, v28, v65 dst_sel:DWORD dst_unused:UNUSED_PAD src0_sel:WORD_1 src1_sel:DWORD
	v_mul_f16_sdwa v56, v28, v57 dst_sel:DWORD dst_unused:UNUSED_PAD src0_sel:WORD_1 src1_sel:DWORD
	v_lshrrev_b32_e32 v69, 16, v58
	v_fma_f16 v45, v28, v57, v45
	v_fma_f16 v28, v28, v65, -v56
	v_mul_f16_sdwa v56, v29, v68 dst_sel:DWORD dst_unused:UNUSED_PAD src0_sel:WORD_1 src1_sel:DWORD
	v_mul_f16_sdwa v57, v29, v59 dst_sel:DWORD dst_unused:UNUSED_PAD src0_sel:WORD_1 src1_sel:DWORD
	v_fma_f16 v56, v29, v59, v56
	v_fma_f16 v29, v29, v68, -v57
	v_mul_f16_sdwa v57, v30, v69 dst_sel:DWORD dst_unused:UNUSED_PAD src0_sel:WORD_1 src1_sel:DWORD
	v_lshrrev_b32_e32 v71, 16, v60
	ds_read_b32 v88, v66 offset:6664
	v_fma_f16 v57, v30, v58, v57
	v_mul_f16_sdwa v58, v30, v58 dst_sel:DWORD dst_unused:UNUSED_PAD src0_sel:WORD_1 src1_sel:DWORD
	s_waitcnt lgkmcnt(2)
	v_lshrrev_b32_e32 v86, 16, v82
	v_fma_f16 v30, v30, v69, -v58
	v_mul_f16_sdwa v58, v31, v71 dst_sel:DWORD dst_unused:UNUSED_PAD src0_sel:WORD_1 src1_sel:DWORD
	v_mul_f16_sdwa v59, v31, v60 dst_sel:DWORD dst_unused:UNUSED_PAD src0_sel:WORD_1 src1_sel:DWORD
	ds_read2_b32 v[53:54], v66 offset1:119
	s_waitcnt lgkmcnt(2)
	v_lshrrev_b32_e32 v89, 16, v84
	v_fma_f16 v58, v31, v60, v58
	v_fma_f16 v31, v31, v71, -v59
	v_mul_f16_sdwa v59, v32, v86 dst_sel:DWORD dst_unused:UNUSED_PAD src0_sel:WORD_1 src1_sel:DWORD
	v_mul_f16_sdwa v60, v32, v82 dst_sel:DWORD dst_unused:UNUSED_PAD src0_sel:WORD_1 src1_sel:DWORD
	v_lshrrev_b32_e32 v90, 16, v83
	v_fma_f16 v59, v32, v82, v59
	v_fma_f16 v32, v32, v86, -v60
	v_mul_f16_sdwa v60, v33, v89 dst_sel:DWORD dst_unused:UNUSED_PAD src0_sel:WORD_1 src1_sel:DWORD
	v_mul_f16_sdwa v65, v33, v84 dst_sel:DWORD dst_unused:UNUSED_PAD src0_sel:WORD_1 src1_sel:DWORD
	;; [unrolled: 5-line block ×3, first 2 shown]
	s_waitcnt lgkmcnt(1)
	v_lshrrev_b32_e32 v93, 16, v88
	v_fma_f16 v65, v34, v83, v65
	v_fma_f16 v34, v34, v90, -v68
	v_mul_f16_sdwa v68, v35, v92 dst_sel:DWORD dst_unused:UNUSED_PAD src0_sel:WORD_1 src1_sel:DWORD
	v_mul_f16_sdwa v69, v35, v85 dst_sel:DWORD dst_unused:UNUSED_PAD src0_sel:WORD_1 src1_sel:DWORD
	v_fma_f16 v68, v35, v85, v68
	v_fma_f16 v35, v35, v92, -v69
	v_mul_f16_sdwa v69, v36, v93 dst_sel:DWORD dst_unused:UNUSED_PAD src0_sel:WORD_1 src1_sel:DWORD
	v_mul_f16_sdwa v71, v36, v88 dst_sel:DWORD dst_unused:UNUSED_PAD src0_sel:WORD_1 src1_sel:DWORD
	v_add_f16_e32 v82, v94, v45
	s_waitcnt lgkmcnt(0)
	v_lshrrev_b32_e32 v24, 16, v53
	v_add_u32_e32 v51, 0x200, v66
	v_fma_f16 v69, v36, v88, v69
	v_fma_f16 v36, v36, v93, -v71
	v_add_f16_e32 v71, v53, v94
	v_fma_f16 v53, v82, -0.5, v53
	v_sub_f16_e32 v82, v27, v28
	s_mov_b32 s4, 0xbaee
	s_movk_i32 s5, 0x3aee
	ds_read2_b32 v[61:62], v51 offset0:110 offset1:229
	v_fma_f16 v83, v82, s4, v53
	v_fma_f16 v53, v82, s5, v53
	v_add_f16_e32 v82, v24, v27
	v_add_f16_e32 v27, v27, v28
	;; [unrolled: 1-line block ×3, first 2 shown]
	v_fma_f16 v24, v27, -0.5, v24
	v_sub_f16_e32 v27, v94, v45
	v_add_f16_e32 v45, v56, v57
	v_lshrrev_b32_e32 v67, 16, v54
	v_add_f16_e32 v82, v82, v28
	v_fma_f16 v28, v27, s5, v24
	v_fma_f16 v24, v27, s4, v24
	v_add_f16_e32 v27, v54, v56
	v_fma_f16 v45, v45, -0.5, v54
	v_sub_f16_e32 v54, v29, v30
	v_fma_f16 v84, v54, s4, v45
	v_fma_f16 v45, v54, s5, v45
	v_add_f16_e32 v54, v67, v29
	v_add_f16_e32 v29, v29, v30
	;; [unrolled: 1-line block ×4, first 2 shown]
	v_fma_f16 v29, v29, -0.5, v67
	v_sub_f16_e32 v30, v56, v57
	v_add_f16_e32 v57, v58, v59
	s_waitcnt lgkmcnt(0)
	v_lshrrev_b32_e32 v70, 16, v61
	v_fma_f16 v56, v30, s5, v29
	v_fma_f16 v29, v30, s4, v29
	v_add_f16_e32 v30, v61, v58
	v_fma_f16 v57, v57, -0.5, v61
	v_sub_f16_e32 v61, v31, v32
	v_fma_f16 v67, v61, s4, v57
	v_fma_f16 v57, v61, s5, v57
	v_add_f16_e32 v61, v70, v31
	v_add_f16_e32 v31, v31, v32
	;; [unrolled: 1-line block ×4, first 2 shown]
	v_fma_f16 v31, v31, -0.5, v70
	v_sub_f16_e32 v32, v58, v59
	v_add_f16_e32 v59, v60, v65
	v_lshrrev_b32_e32 v87, 16, v62
	v_fma_f16 v58, v32, s5, v31
	v_fma_f16 v31, v32, s4, v31
	v_add_f16_e32 v32, v62, v60
	v_fma_f16 v59, v59, -0.5, v62
	v_sub_f16_e32 v62, v33, v34
	v_fma_f16 v70, v62, s4, v59
	v_fma_f16 v59, v62, s5, v59
	v_add_f16_e32 v62, v87, v33
	v_add_f16_e32 v33, v33, v34
	;; [unrolled: 1-line block ×4, first 2 shown]
	v_fma_f16 v33, v33, -0.5, v87
	v_sub_f16_e32 v34, v60, v65
	v_add_f16_e32 v65, v68, v69
	v_lshrrev_b32_e32 v91, 16, v55
	v_fma_f16 v60, v34, s5, v33
	v_fma_f16 v33, v34, s4, v33
	v_add_f16_e32 v34, v55, v68
	v_fma_f16 v55, v65, -0.5, v55
	v_sub_f16_e32 v65, v35, v36
	v_fma_f16 v85, v65, s4, v55
	v_fma_f16 v55, v65, s5, v55
	v_add_f16_e32 v65, v91, v35
	v_add_f16_e32 v35, v35, v36
	;; [unrolled: 1-line block ×3, first 2 shown]
	v_fma_f16 v35, v35, -0.5, v91
	v_sub_f16_e32 v36, v68, v69
	v_pack_b32_f16 v24, v53, v24
	v_fma_f16 v68, v36, s5, v35
	v_fma_f16 v35, v36, s4, v35
	s_barrier
	v_pack_b32_f16 v36, v71, v82
	v_pack_b32_f16 v28, v83, v28
	ds_write_b32 v137, v24 offset:136
	v_pack_b32_f16 v24, v27, v54
	v_pack_b32_f16 v27, v84, v56
	ds_write2_b32 v137, v36, v28 offset1:17
	ds_write2_b32 v168, v24, v27 offset1:17
	v_pack_b32_f16 v24, v45, v29
	ds_write_b32 v168, v24 offset:136
	v_pack_b32_f16 v24, v30, v61
	v_pack_b32_f16 v27, v67, v58
	ds_write2_b32 v169, v24, v27 offset1:17
	v_pack_b32_f16 v24, v57, v31
	ds_write_b32 v169, v24 offset:136
	v_pack_b32_f16 v24, v32, v62
	v_pack_b32_f16 v27, v70, v60
	v_add_f16_e32 v34, v34, v69
	ds_write2_b32 v170, v24, v27 offset1:17
	v_pack_b32_f16 v24, v59, v33
	ds_write_b32 v170, v24 offset:136
	v_pack_b32_f16 v24, v34, v65
	v_pack_b32_f16 v27, v85, v68
	ds_write2_b32 v172, v24, v27 offset1:17
	v_pack_b32_f16 v24, v55, v35
	ds_write_b32 v172, v24 offset:136
	s_waitcnt lgkmcnt(0)
	s_barrier
	ds_read2_b32 v[27:28], v66 offset1:119
	ds_read2_b32 v[29:30], v51 offset0:110 offset1:229
	ds_read2_b32 v[31:32], v49 offset0:74 offset1:193
	;; [unrolled: 1-line block ×5, first 2 shown]
	s_waitcnt lgkmcnt(4)
	v_lshrrev_b32_e32 v45, 16, v30
	v_mul_f16_sdwa v84, v4, v45 dst_sel:DWORD dst_unused:UNUSED_PAD src0_sel:WORD_1 src1_sel:DWORD
	s_waitcnt lgkmcnt(3)
	v_lshrrev_b32_e32 v57, 16, v31
	v_fma_f16 v84, v4, v30, v84
	v_mul_f16_sdwa v30, v4, v30 dst_sel:DWORD dst_unused:UNUSED_PAD src0_sel:WORD_1 src1_sel:DWORD
	v_fma_f16 v4, v4, v45, -v30
	v_mul_f16_sdwa v30, v5, v57 dst_sel:DWORD dst_unused:UNUSED_PAD src0_sel:WORD_1 src1_sel:DWORD
	s_waitcnt lgkmcnt(2)
	v_lshrrev_b32_e32 v58, 16, v34
	v_fma_f16 v30, v5, v31, v30
	v_mul_f16_sdwa v31, v5, v31 dst_sel:DWORD dst_unused:UNUSED_PAD src0_sel:WORD_1 src1_sel:DWORD
	v_fma_f16 v5, v5, v57, -v31
	v_mul_f16_sdwa v31, v6, v58 dst_sel:DWORD dst_unused:UNUSED_PAD src0_sel:WORD_1 src1_sel:DWORD
	ds_read2_b32 v[55:56], v47 offset0:38 offset1:157
	s_waitcnt lgkmcnt(2)
	v_lshrrev_b32_e32 v59, 16, v35
	v_fma_f16 v31, v6, v34, v31
	v_mul_f16_sdwa v34, v6, v34 dst_sel:DWORD dst_unused:UNUSED_PAD src0_sel:WORD_1 src1_sel:DWORD
	v_fma_f16 v6, v6, v58, -v34
	v_mul_f16_sdwa v34, v7, v59 dst_sel:DWORD dst_unused:UNUSED_PAD src0_sel:WORD_1 src1_sel:DWORD
	s_waitcnt lgkmcnt(1)
	v_lshrrev_b32_e32 v61, 16, v53
	v_fma_f16 v34, v7, v35, v34
	v_mul_f16_sdwa v35, v7, v35 dst_sel:DWORD dst_unused:UNUSED_PAD src0_sel:WORD_1 src1_sel:DWORD
	v_lshrrev_b32_e32 v62, 16, v32
	v_fma_f16 v7, v7, v59, -v35
	v_mul_f16_sdwa v35, v8, v61 dst_sel:DWORD dst_unused:UNUSED_PAD src0_sel:WORD_1 src1_sel:DWORD
	v_mul_f16_sdwa v45, v8, v53 dst_sel:DWORD dst_unused:UNUSED_PAD src0_sel:WORD_1 src1_sel:DWORD
	v_fma_f16 v35, v8, v53, v35
	v_fma_f16 v8, v8, v61, -v45
	v_mul_f16_sdwa v45, v9, v62 dst_sel:DWORD dst_unused:UNUSED_PAD src0_sel:WORD_1 src1_sel:DWORD
	s_waitcnt lgkmcnt(0)
	v_lshrrev_b32_e32 v65, 16, v55
	v_fma_f16 v45, v9, v32, v45
	v_mul_f16_sdwa v32, v9, v32 dst_sel:DWORD dst_unused:UNUSED_PAD src0_sel:WORD_1 src1_sel:DWORD
	v_lshrrev_b32_e32 v67, 16, v36
	v_fma_f16 v9, v9, v62, -v32
	v_mul_f16_sdwa v32, v10, v65 dst_sel:DWORD dst_unused:UNUSED_PAD src0_sel:WORD_1 src1_sel:DWORD
	v_mul_f16_sdwa v53, v10, v55 dst_sel:DWORD dst_unused:UNUSED_PAD src0_sel:WORD_1 src1_sel:DWORD
	v_fma_f16 v32, v10, v55, v32
	v_fma_f16 v10, v10, v65, -v53
	v_mul_f16_sdwa v53, v11, v67 dst_sel:DWORD dst_unused:UNUSED_PAD src0_sel:WORD_1 src1_sel:DWORD
	ds_read_b32 v68, v66 offset:6664
	v_lshrrev_b32_e32 v70, 16, v54
	v_fma_f16 v53, v11, v36, v53
	v_mul_f16_sdwa v36, v11, v36 dst_sel:DWORD dst_unused:UNUSED_PAD src0_sel:WORD_1 src1_sel:DWORD
	v_fma_f16 v11, v11, v67, -v36
	v_mul_f16_sdwa v36, v12, v70 dst_sel:DWORD dst_unused:UNUSED_PAD src0_sel:WORD_1 src1_sel:DWORD
	v_lshrrev_b32_e32 v71, 16, v33
	v_fma_f16 v36, v12, v54, v36
	v_mul_f16_sdwa v54, v12, v54 dst_sel:DWORD dst_unused:UNUSED_PAD src0_sel:WORD_1 src1_sel:DWORD
	v_fma_f16 v12, v12, v70, -v54
	v_mul_f16_sdwa v54, v13, v71 dst_sel:DWORD dst_unused:UNUSED_PAD src0_sel:WORD_1 src1_sel:DWORD
	v_add_f16_e32 v57, v30, v31
	v_lshrrev_b32_e32 v82, 16, v56
	v_fma_f16 v54, v13, v33, v54
	v_mul_f16_sdwa v33, v13, v33 dst_sel:DWORD dst_unused:UNUSED_PAD src0_sel:WORD_1 src1_sel:DWORD
	v_fma_f16 v57, v57, -0.5, v27
	v_sub_f16_e32 v58, v4, v7
	s_mov_b32 s4, 0xbb9c
	s_movk_i32 s15, 0x3b9c
	s_waitcnt lgkmcnt(0)
	v_lshrrev_b32_e32 v83, 16, v68
	v_fma_f16 v13, v13, v71, -v33
	v_mul_f16_sdwa v33, v14, v82 dst_sel:DWORD dst_unused:UNUSED_PAD src0_sel:WORD_1 src1_sel:DWORD
	v_mul_f16_sdwa v55, v14, v56 dst_sel:DWORD dst_unused:UNUSED_PAD src0_sel:WORD_1 src1_sel:DWORD
	v_fma_f16 v59, v58, s4, v57
	v_sub_f16_e32 v61, v5, v6
	s_mov_b32 s5, 0xb8b4
	v_sub_f16_e32 v62, v84, v30
	v_sub_f16_e32 v65, v34, v31
	v_fma_f16 v57, v58, s15, v57
	s_movk_i32 s16, 0x38b4
	v_fma_f16 v33, v14, v56, v33
	v_fma_f16 v14, v14, v82, -v55
	v_mul_f16_sdwa v55, v15, v83 dst_sel:DWORD dst_unused:UNUSED_PAD src0_sel:WORD_1 src1_sel:DWORD
	v_mul_f16_sdwa v56, v15, v68 dst_sel:DWORD dst_unused:UNUSED_PAD src0_sel:WORD_1 src1_sel:DWORD
	v_fma_f16 v59, v61, s5, v59
	v_add_f16_e32 v62, v62, v65
	s_movk_i32 s14, 0x34f2
	v_fma_f16 v57, v61, s16, v57
	v_fma_f16 v55, v15, v68, v55
	v_fma_f16 v15, v15, v83, -v56
	v_add_f16_e32 v56, v27, v84
	v_fma_f16 v59, v62, s14, v59
	v_fma_f16 v57, v62, s14, v57
	v_add_f16_e32 v62, v84, v34
	v_lshrrev_b32_e32 v24, 16, v27
	v_add_f16_e32 v56, v56, v30
	v_fma_f16 v27, v62, -0.5, v27
	v_add_f16_e32 v56, v56, v31
	v_fma_f16 v62, v61, s15, v27
	v_sub_f16_e32 v65, v30, v84
	v_sub_f16_e32 v67, v31, v34
	v_fma_f16 v27, v61, s4, v27
	v_add_f16_e32 v61, v5, v6
	v_add_f16_e32 v56, v56, v34
	v_fma_f16 v62, v58, s5, v62
	v_add_f16_e32 v65, v65, v67
	v_fma_f16 v27, v58, s16, v27
	v_fma_f16 v61, v61, -0.5, v24
	v_sub_f16_e32 v34, v84, v34
	v_fma_f16 v62, v65, s14, v62
	v_fma_f16 v27, v65, s14, v27
	;; [unrolled: 1-line block ×3, first 2 shown]
	v_sub_f16_e32 v30, v30, v31
	v_fma_f16 v31, v30, s16, v65
	v_sub_f16_e32 v65, v4, v5
	v_sub_f16_e32 v67, v7, v6
	v_fma_f16 v61, v34, s4, v61
	v_add_f16_e32 v58, v24, v4
	v_add_f16_e32 v65, v65, v67
	v_fma_f16 v61, v30, s5, v61
	v_add_f16_e32 v58, v58, v5
	v_fma_f16 v31, v65, s14, v31
	v_fma_f16 v61, v65, s14, v61
	v_add_f16_e32 v65, v4, v7
	v_add_f16_e32 v58, v58, v6
	v_fma_f16 v24, v65, -0.5, v24
	v_add_f16_e32 v58, v58, v7
	v_fma_f16 v65, v30, s4, v24
	v_sub_f16_e32 v4, v5, v4
	v_sub_f16_e32 v5, v6, v7
	v_add_f16_e32 v7, v45, v32
	v_fma_f16 v65, v34, s16, v65
	v_add_f16_e32 v4, v4, v5
	v_fma_f16 v6, v30, s15, v24
	v_fma_f16 v7, v7, -0.5, v28
	v_sub_f16_e32 v24, v8, v11
	v_fma_f16 v5, v4, s14, v65
	v_fma_f16 v6, v34, s5, v6
	v_fma_f16 v30, v24, s4, v7
	v_sub_f16_e32 v34, v9, v10
	v_sub_f16_e32 v65, v35, v45
	;; [unrolled: 1-line block ×3, first 2 shown]
	v_fma_f16 v7, v24, s15, v7
	v_fma_f16 v30, v34, s5, v30
	v_add_f16_e32 v65, v65, v67
	v_fma_f16 v7, v34, s16, v7
	v_fma_f16 v30, v65, s14, v30
	;; [unrolled: 1-line block ×3, first 2 shown]
	v_add_f16_e32 v65, v35, v53
	v_lshrrev_b32_e32 v60, 16, v28
	v_fma_f16 v4, v4, s14, v6
	v_add_f16_e32 v6, v28, v35
	v_fma_f16 v28, v65, -0.5, v28
	v_add_f16_e32 v6, v6, v45
	v_fma_f16 v65, v34, s15, v28
	v_fma_f16 v28, v34, s4, v28
	v_add_f16_e32 v34, v9, v10
	v_add_f16_e32 v6, v6, v32
	v_sub_f16_e32 v67, v45, v35
	v_sub_f16_e32 v68, v32, v53
	v_fma_f16 v34, v34, -0.5, v60
	v_sub_f16_e32 v35, v35, v53
	v_add_f16_e32 v6, v6, v53
	v_fma_f16 v65, v24, s5, v65
	v_add_f16_e32 v67, v67, v68
	v_fma_f16 v24, v24, s16, v28
	v_fma_f16 v53, v35, s15, v34
	v_sub_f16_e32 v32, v45, v32
	v_fma_f16 v65, v67, s14, v65
	v_fma_f16 v24, v67, s14, v24
	v_fma_f16 v45, v32, s16, v53
	v_sub_f16_e32 v53, v8, v9
	v_sub_f16_e32 v67, v11, v10
	v_add_f16_e32 v28, v60, v8
	v_add_f16_e32 v53, v53, v67
	;; [unrolled: 1-line block ×3, first 2 shown]
	v_fma_f16 v67, v53, s14, v45
	v_fma_f16 v34, v35, s4, v34
	v_add_f16_e32 v45, v8, v11
	v_add_f16_e32 v28, v28, v10
	v_fma_f16 v34, v32, s5, v34
	v_fma_f16 v45, v45, -0.5, v60
	v_add_f16_e32 v28, v28, v11
	v_fma_f16 v34, v53, s14, v34
	v_fma_f16 v53, v32, s4, v45
	v_sub_f16_e32 v8, v9, v8
	v_sub_f16_e32 v9, v10, v11
	v_add_f16_e32 v11, v54, v33
	v_fma_f16 v53, v35, s16, v53
	v_add_f16_e32 v8, v8, v9
	v_fma_f16 v10, v32, s15, v45
	v_fma_f16 v11, v11, -0.5, v29
	v_sub_f16_e32 v32, v12, v15
	v_fma_f16 v9, v8, s14, v53
	v_fma_f16 v10, v35, s5, v10
	;; [unrolled: 1-line block ×3, first 2 shown]
	v_sub_f16_e32 v53, v13, v14
	v_sub_f16_e32 v45, v36, v54
	;; [unrolled: 1-line block ×3, first 2 shown]
	v_fma_f16 v11, v32, s15, v11
	v_fma_f16 v35, v53, s5, v35
	v_add_f16_e32 v45, v45, v60
	v_fma_f16 v11, v53, s16, v11
	v_fma_f16 v35, v45, s14, v35
	;; [unrolled: 1-line block ×3, first 2 shown]
	v_add_f16_e32 v11, v36, v55
	v_fma_f16 v11, v11, -0.5, v29
	v_lshrrev_b32_e32 v69, 16, v29
	v_fma_f16 v8, v8, s14, v10
	v_add_f16_e32 v10, v29, v36
	v_fma_f16 v29, v53, s15, v11
	v_sub_f16_e32 v60, v54, v36
	v_sub_f16_e32 v68, v33, v55
	v_fma_f16 v29, v32, s5, v29
	v_add_f16_e32 v60, v60, v68
	v_fma_f16 v68, v60, s14, v29
	v_add_f16_e32 v29, v69, v12
	v_add_f16_e32 v29, v29, v13
	v_fma_f16 v11, v53, s4, v11
	v_add_f16_e32 v29, v29, v14
	;; [unrolled: 3-line block ×3, first 2 shown]
	v_add_f16_e32 v29, v13, v14
	v_add_f16_e32 v10, v10, v33
	v_fma_f16 v29, v29, -0.5, v69
	v_sub_f16_e32 v36, v36, v55
	v_add_f16_e32 v10, v10, v55
	v_fma_f16 v53, v36, s15, v29
	v_sub_f16_e32 v33, v54, v33
	v_sub_f16_e32 v54, v12, v13
	;; [unrolled: 1-line block ×3, first 2 shown]
	v_fma_f16 v29, v36, s4, v29
	v_fma_f16 v53, v33, s16, v53
	v_add_f16_e32 v54, v54, v55
	v_fma_f16 v29, v33, s5, v29
	v_fma_f16 v53, v54, s14, v53
	;; [unrolled: 1-line block ×3, first 2 shown]
	v_add_f16_e32 v54, v12, v15
	v_fma_f16 v54, v54, -0.5, v69
	v_fma_f16 v55, v33, s4, v54
	v_sub_f16_e32 v12, v13, v12
	v_sub_f16_e32 v13, v14, v15
	v_fma_f16 v14, v33, s15, v54
	v_pack_b32_f16 v5, v62, v5
	v_pack_b32_f16 v4, v27, v4
	v_fma_f16 v55, v36, s16, v55
	v_add_f16_e32 v12, v12, v13
	v_fma_f16 v14, v36, s5, v14
	s_barrier
	ds_write2_b32 v72, v5, v4 offset0:102 offset1:153
	v_pack_b32_f16 v4, v57, v61
	v_fma_f16 v13, v12, s14, v55
	v_fma_f16 v12, v12, s14, v14
	v_pack_b32_f16 v14, v56, v58
	v_pack_b32_f16 v15, v59, v31
	ds_write_b32 v72, v4 offset:816
	v_pack_b32_f16 v4, v6, v28
	v_pack_b32_f16 v5, v30, v67
	ds_write2_b32 v72, v14, v15 offset1:51
	ds_write2_b32 v73, v4, v5 offset1:51
	v_pack_b32_f16 v4, v65, v9
	v_pack_b32_f16 v5, v24, v8
	ds_write2_b32 v73, v4, v5 offset0:102 offset1:153
	v_pack_b32_f16 v4, v7, v34
	v_fma_f16 v11, v60, s14, v11
	ds_write_b32 v73, v4 offset:816
	v_pack_b32_f16 v4, v10, v32
	v_pack_b32_f16 v5, v35, v53
	ds_write2_b32 v74, v4, v5 offset1:51
	v_pack_b32_f16 v4, v68, v13
	v_pack_b32_f16 v5, v11, v12
	ds_write2_b32 v74, v4, v5 offset0:102 offset1:153
	v_pack_b32_f16 v4, v45, v29
	ds_write_b32 v74, v4 offset:816
	s_waitcnt lgkmcnt(0)
	s_barrier
	ds_read2_b32 v[4:5], v66 offset1:119
	ds_read2_b32 v[27:28], v51 offset0:127 offset1:246
	ds_read2_b32 v[14:15], v48 offset0:126 offset1:245
	;; [unrolled: 1-line block ×6, first 2 shown]
	s_and_saveexec_b64 s[4:5], s[2:3]
	s_cbranch_execz .LBB0_19
; %bb.18:
	v_add_u32_e32 v24, 0x3b8, v66
	ds_read2_b32 v[45:46], v24 offset1:255
	v_add_u32_e32 v24, 0xbb0, v66
	v_add_u32_e32 v29, 0x13a8, v66
	ds_read2_b32 v[41:42], v24 offset1:255
	ds_read2_b32 v[43:44], v29 offset1:255
	ds_read_b32 v78, v66 offset:7072
	s_waitcnt lgkmcnt(3)
	v_lshrrev_b32_e32 v29, 16, v45
	v_lshrrev_b32_e32 v81, 16, v46
	s_waitcnt lgkmcnt(2)
	v_lshrrev_b32_e32 v80, 16, v41
	v_lshrrev_b32_e32 v76, 16, v42
	;; [unrolled: 3-line block ×3, first 2 shown]
	s_waitcnt lgkmcnt(0)
	v_lshrrev_b32_e32 v79, 16, v78
.LBB0_19:
	s_or_b64 exec, exec, s[4:5]
	s_waitcnt lgkmcnt(5)
	v_lshrrev_b32_e32 v24, 16, v27
	v_mul_f16_sdwa v57, v16, v24 dst_sel:DWORD dst_unused:UNUSED_PAD src0_sel:WORD_1 src1_sel:DWORD
	s_waitcnt lgkmcnt(4)
	v_lshrrev_b32_e32 v30, 16, v14
	v_fma_f16 v57, v16, v27, v57
	v_mul_f16_sdwa v27, v16, v27 dst_sel:DWORD dst_unused:UNUSED_PAD src0_sel:WORD_1 src1_sel:DWORD
	v_fma_f16 v16, v16, v24, -v27
	v_mul_f16_sdwa v24, v17, v30 dst_sel:DWORD dst_unused:UNUSED_PAD src0_sel:WORD_1 src1_sel:DWORD
	v_lshrrev_b32_e32 v35, 16, v28
	v_fma_f16 v24, v17, v14, v24
	v_mul_f16_sdwa v14, v17, v14 dst_sel:DWORD dst_unused:UNUSED_PAD src0_sel:WORD_1 src1_sel:DWORD
	s_waitcnt lgkmcnt(3)
	v_lshrrev_b32_e32 v31, 16, v12
	v_fma_f16 v14, v17, v30, -v14
	v_mul_f16_sdwa v30, v20, v35 dst_sel:DWORD dst_unused:UNUSED_PAD src0_sel:WORD_1 src1_sel:DWORD
	v_lshrrev_b32_e32 v36, 16, v15
	v_mul_f16_sdwa v17, v18, v31 dst_sel:DWORD dst_unused:UNUSED_PAD src0_sel:WORD_1 src1_sel:DWORD
	v_fma_f16 v30, v20, v28, v30
	v_mul_f16_sdwa v28, v20, v28 dst_sel:DWORD dst_unused:UNUSED_PAD src0_sel:WORD_1 src1_sel:DWORD
	s_waitcnt lgkmcnt(2)
	v_lshrrev_b32_e32 v32, 16, v10
	v_fma_f16 v17, v18, v12, v17
	v_mul_f16_sdwa v12, v18, v12 dst_sel:DWORD dst_unused:UNUSED_PAD src0_sel:WORD_1 src1_sel:DWORD
	v_fma_f16 v20, v20, v35, -v28
	v_mul_f16_sdwa v28, v21, v36 dst_sel:DWORD dst_unused:UNUSED_PAD src0_sel:WORD_1 src1_sel:DWORD
	v_lshrrev_b32_e32 v53, 16, v13
	v_fma_f16 v12, v18, v31, -v12
	v_mul_f16_sdwa v18, v19, v32 dst_sel:DWORD dst_unused:UNUSED_PAD src0_sel:WORD_1 src1_sel:DWORD
	v_fma_f16 v28, v21, v15, v28
	v_mul_f16_sdwa v15, v21, v15 dst_sel:DWORD dst_unused:UNUSED_PAD src0_sel:WORD_1 src1_sel:DWORD
	s_waitcnt lgkmcnt(1)
	v_lshrrev_b32_e32 v33, 16, v8
	s_waitcnt lgkmcnt(0)
	v_lshrrev_b32_e32 v34, 16, v6
	v_fma_f16 v18, v19, v10, v18
	v_mul_f16_sdwa v10, v19, v10 dst_sel:DWORD dst_unused:UNUSED_PAD src0_sel:WORD_1 src1_sel:DWORD
	v_fma_f16 v15, v21, v36, -v15
	v_mul_f16_sdwa v21, v22, v53 dst_sel:DWORD dst_unused:UNUSED_PAD src0_sel:WORD_1 src1_sel:DWORD
	v_lshrrev_b32_e32 v54, 16, v11
	v_fma_f16 v10, v19, v32, -v10
	v_mul_f16_sdwa v19, v37, v33 dst_sel:DWORD dst_unused:UNUSED_PAD src0_sel:WORD_1 src1_sel:DWORD
	v_mul_f16_sdwa v27, v38, v34 dst_sel:DWORD dst_unused:UNUSED_PAD src0_sel:WORD_1 src1_sel:DWORD
	v_fma_f16 v21, v22, v13, v21
	v_mul_f16_sdwa v13, v22, v13 dst_sel:DWORD dst_unused:UNUSED_PAD src0_sel:WORD_1 src1_sel:DWORD
	v_fma_f16 v19, v37, v8, v19
	;; [unrolled: 2-line block ×3, first 2 shown]
	v_mul_f16_sdwa v6, v38, v6 dst_sel:DWORD dst_unused:UNUSED_PAD src0_sel:WORD_1 src1_sel:DWORD
	v_fma_f16 v13, v22, v53, -v13
	v_mul_f16_sdwa v22, v23, v54 dst_sel:DWORD dst_unused:UNUSED_PAD src0_sel:WORD_1 src1_sel:DWORD
	v_lshrrev_b32_e32 v55, 16, v9
	v_lshrrev_b32_e32 v56, 16, v7
	v_fma_f16 v8, v37, v33, -v8
	v_fma_f16 v6, v38, v34, -v6
	v_fma_f16 v22, v23, v11, v22
	v_mul_f16_sdwa v11, v23, v11 dst_sel:DWORD dst_unused:UNUSED_PAD src0_sel:WORD_1 src1_sel:DWORD
	v_fma_f16 v11, v23, v54, -v11
	v_mul_f16_sdwa v23, v39, v55 dst_sel:DWORD dst_unused:UNUSED_PAD src0_sel:WORD_1 src1_sel:DWORD
	v_mul_f16_sdwa v31, v40, v56 dst_sel:DWORD dst_unused:UNUSED_PAD src0_sel:WORD_1 src1_sel:DWORD
	v_add_f16_e32 v32, v57, v27
	v_add_f16_e32 v33, v16, v6
	v_sub_f16_e32 v6, v16, v6
	v_add_f16_e32 v16, v24, v19
	v_add_f16_e32 v34, v14, v8
	v_fma_f16 v23, v39, v9, v23
	v_mul_f16_sdwa v9, v39, v9 dst_sel:DWORD dst_unused:UNUSED_PAD src0_sel:WORD_1 src1_sel:DWORD
	v_fma_f16 v31, v40, v7, v31
	v_mul_f16_sdwa v7, v40, v7 dst_sel:DWORD dst_unused:UNUSED_PAD src0_sel:WORD_1 src1_sel:DWORD
	v_sub_f16_e32 v27, v57, v27
	v_sub_f16_e32 v19, v24, v19
	;; [unrolled: 1-line block ×3, first 2 shown]
	v_add_f16_e32 v14, v17, v18
	v_add_f16_e32 v24, v12, v10
	v_sub_f16_e32 v17, v18, v17
	v_sub_f16_e32 v10, v10, v12
	v_add_f16_e32 v12, v16, v32
	v_add_f16_e32 v18, v34, v33
	v_fma_f16 v9, v39, v55, -v9
	v_fma_f16 v7, v40, v56, -v7
	v_sub_f16_e32 v35, v16, v32
	v_sub_f16_e32 v36, v34, v33
	;; [unrolled: 1-line block ×6, first 2 shown]
	v_add_f16_e32 v37, v17, v19
	v_add_f16_e32 v38, v10, v8
	v_sub_f16_e32 v39, v17, v19
	v_sub_f16_e32 v40, v10, v8
	;; [unrolled: 1-line block ×4, first 2 shown]
	v_add_f16_e32 v12, v14, v12
	v_add_f16_e32 v14, v24, v18
	v_sub_f16_e32 v17, v27, v17
	v_sub_f16_e32 v10, v6, v10
	v_add_f16_e32 v18, v37, v27
	v_add_f16_e32 v6, v38, v6
	;; [unrolled: 1-line block ×3, first 2 shown]
	v_add_f16_sdwa v4, v4, v14 dst_sel:DWORD dst_unused:UNUSED_PAD src0_sel:WORD_1 src1_sel:DWORD
	v_mul_f16_e32 v27, 0x3a52, v32
	v_mul_f16_e32 v32, 0x3a52, v33
	s_movk_i32 s19, 0x2b26
	v_mul_f16_e32 v33, 0x2b26, v16
	v_mul_f16_e32 v37, 0x2b26, v34
	;; [unrolled: 1-line block ×4, first 2 shown]
	s_mov_b32 s14, 0xbb00
	v_mul_f16_e32 v40, 0xbb00, v19
	v_mul_f16_e32 v53, 0xbb00, v8
	s_mov_b32 s20, 0xbcab
	s_movk_i32 s15, 0x39e0
	s_mov_b32 s16, 0xb9e0
	s_mov_b32 s21, 0xb574
	s_movk_i32 s17, 0x3574
	v_fma_f16 v12, v12, s20, v24
	v_fma_f16 v14, v14, s20, v4
	;; [unrolled: 1-line block ×4, first 2 shown]
	v_fma_f16 v33, v35, s15, -v33
	v_fma_f16 v37, v36, s15, -v37
	;; [unrolled: 1-line block ×4, first 2 shown]
	v_fma_f16 v35, v17, s21, v38
	v_fma_f16 v36, v10, s21, v39
	v_fma_f16 v8, v8, s14, -v39
	v_fma_f16 v17, v17, s17, -v40
	;; [unrolled: 1-line block ×3, first 2 shown]
	s_mov_b32 s18, 0xb70e
	v_fma_f16 v19, v19, s14, -v38
	v_add_f16_e32 v16, v16, v12
	v_add_f16_e32 v34, v34, v14
	;; [unrolled: 1-line block ×6, first 2 shown]
	v_fma_f16 v27, v18, s18, v35
	v_fma_f16 v32, v6, s18, v36
	;; [unrolled: 1-line block ×6, first 2 shown]
	v_add_f16_e32 v10, v32, v16
	v_sub_f16_e32 v18, v34, v27
	v_add_f16_e32 v35, v6, v12
	v_sub_f16_e32 v36, v14, v17
	v_sub_f16_e32 v6, v12, v6
	v_add_f16_e32 v12, v17, v14
	v_sub_f16_e32 v14, v16, v32
	v_add_f16_e32 v16, v27, v34
	v_add_f16_e32 v17, v30, v31
	;; [unrolled: 1-line block ×3, first 2 shown]
	v_sub_f16_e32 v30, v30, v31
	v_sub_f16_e32 v7, v20, v7
	v_add_f16_e32 v20, v28, v23
	v_add_f16_e32 v31, v15, v9
	v_sub_f16_e32 v23, v28, v23
	v_sub_f16_e32 v9, v15, v9
	v_add_f16_e32 v15, v21, v22
	v_add_f16_e32 v28, v13, v11
	;; [unrolled: 4-line block ×3, first 2 shown]
	v_sub_f16_e32 v38, v33, v8
	v_add_f16_e32 v39, v19, v37
	v_add_f16_e32 v8, v8, v33
	v_sub_f16_e32 v19, v37, v19
	v_sub_f16_e32 v32, v20, v17
	;; [unrolled: 1-line block ×7, first 2 shown]
	v_add_f16_e32 v34, v21, v23
	v_add_f16_e32 v37, v11, v9
	v_sub_f16_e32 v40, v21, v23
	v_sub_f16_e32 v53, v11, v9
	v_add_f16_e32 v13, v15, v13
	v_add_f16_e32 v15, v28, v22
	v_sub_f16_e32 v21, v30, v21
	v_sub_f16_e32 v11, v7, v11
	;; [unrolled: 1-line block ×4, first 2 shown]
	v_add_f16_e32 v22, v34, v30
	v_add_f16_e32 v7, v37, v7
	v_add_f16_e32 v28, v5, v13
	v_add_f16_sdwa v5, v5, v15 dst_sel:DWORD dst_unused:UNUSED_PAD src0_sel:WORD_1 src1_sel:DWORD
	v_mul_f16_e32 v17, 0x3a52, v17
	v_mul_f16_e32 v27, 0x3a52, v27
	;; [unrolled: 1-line block ×8, first 2 shown]
	v_fma_f16 v13, v13, s20, v28
	v_fma_f16 v15, v15, s20, v5
	;; [unrolled: 1-line block ×4, first 2 shown]
	v_fma_f16 v30, v32, s15, -v30
	v_fma_f16 v34, v33, s15, -v34
	;; [unrolled: 1-line block ×4, first 2 shown]
	v_fma_f16 v32, v21, s21, v37
	v_fma_f16 v33, v11, s21, v40
	v_fma_f16 v23, v23, s14, -v37
	v_fma_f16 v9, v9, s14, -v40
	;; [unrolled: 1-line block ×4, first 2 shown]
	v_add_f16_e32 v20, v20, v13
	v_add_f16_e32 v31, v31, v15
	;; [unrolled: 1-line block ×6, first 2 shown]
	v_fma_f16 v17, v22, s18, v32
	v_fma_f16 v27, v7, s18, v33
	;; [unrolled: 1-line block ×6, first 2 shown]
	v_add_f16_e32 v11, v27, v20
	v_sub_f16_e32 v22, v31, v17
	v_pack_b32_f16 v4, v24, v4
	v_pack_b32_f16 v5, v28, v5
	v_add_f16_e32 v32, v7, v13
	v_sub_f16_e32 v33, v15, v21
	v_pack_b32_f16 v10, v10, v18
	ds_write2_b32 v66, v4, v5 offset1:119
	v_pack_b32_f16 v4, v11, v22
	v_sub_f16_e32 v37, v30, v9
	v_add_f16_e32 v40, v23, v34
	v_pack_b32_f16 v18, v35, v36
	ds_write2_b32 v51, v10, v4 offset0:127 offset1:246
	v_pack_b32_f16 v4, v32, v33
	v_add_f16_e32 v9, v9, v30
	v_sub_f16_e32 v23, v34, v23
	v_sub_f16_e32 v7, v13, v7
	v_add_f16_e32 v13, v21, v15
	v_sub_f16_e32 v15, v20, v27
	v_pack_b32_f16 v20, v38, v39
	ds_write2_b32 v48, v18, v4 offset0:126 offset1:245
	v_pack_b32_f16 v4, v37, v40
	v_pack_b32_f16 v8, v8, v19
	ds_write2_b32 v49, v20, v4 offset0:125 offset1:244
	v_pack_b32_f16 v4, v9, v23
	v_add_f16_e32 v17, v17, v31
	v_pack_b32_f16 v6, v6, v12
	ds_write2_b32 v52, v8, v4 offset0:124 offset1:243
	v_pack_b32_f16 v4, v7, v13
	v_pack_b32_f16 v12, v14, v16
	ds_write2_b32 v47, v6, v4 offset0:123 offset1:242
	v_pack_b32_f16 v4, v15, v17
	ds_write2_b32 v50, v12, v4 offset0:122 offset1:241
	s_and_saveexec_b64 s[4:5], s[2:3]
	s_cbranch_execz .LBB0_21
; %bb.20:
	v_mul_f16_sdwa v8, v2, v76 dst_sel:DWORD dst_unused:UNUSED_PAD src0_sel:WORD_1 src1_sel:DWORD
	v_mul_f16_sdwa v18, v2, v42 dst_sel:DWORD dst_unused:UNUSED_PAD src0_sel:WORD_1 src1_sel:DWORD
	;; [unrolled: 1-line block ×5, first 2 shown]
	v_fma_f16 v8, v2, v42, v8
	v_mul_f16_sdwa v11, v1, v80 dst_sel:DWORD dst_unused:UNUSED_PAD src0_sel:WORD_1 src1_sel:DWORD
	v_mul_f16_sdwa v12, v25, v167 dst_sel:DWORD dst_unused:UNUSED_PAD src0_sel:WORD_1 src1_sel:DWORD
	;; [unrolled: 1-line block ×4, first 2 shown]
	v_fma_f16 v2, v2, v76, -v18
	v_mul_f16_sdwa v18, v3, v43 dst_sel:DWORD dst_unused:UNUSED_PAD src0_sel:WORD_1 src1_sel:DWORD
	v_mul_f16_sdwa v20, v25, v44 dst_sel:DWORD dst_unused:UNUSED_PAD src0_sel:WORD_1 src1_sel:DWORD
	;; [unrolled: 1-line block ×3, first 2 shown]
	v_fma_f16 v4, v0, v46, v4
	v_fma_f16 v5, v26, v78, v5
	v_fma_f16 v7, v3, v43, v7
	v_fma_f16 v11, v1, v41, v11
	v_fma_f16 v12, v25, v44, v12
	v_fma_f16 v16, v26, v79, -v16
	v_fma_f16 v0, v0, v81, -v17
	;; [unrolled: 1-line block ×5, first 2 shown]
	v_sub_f16_e32 v6, v4, v5
	v_sub_f16_e32 v9, v7, v8
	;; [unrolled: 1-line block ×3, first 2 shown]
	v_add_f16_e32 v17, v16, v0
	v_add_f16_e32 v18, v2, v3
	v_add_f16_e32 v21, v20, v1
	v_sub_f16_e32 v0, v0, v16
	v_sub_f16_e32 v2, v3, v2
	;; [unrolled: 1-line block ×5, first 2 shown]
	v_add_f16_e32 v9, v9, v13
	v_add_f16_e32 v4, v5, v4
	;; [unrolled: 1-line block ×4, first 2 shown]
	v_sub_f16_e32 v3, v0, v2
	v_sub_f16_e32 v16, v2, v1
	v_add_f16_e32 v2, v2, v1
	v_add_f16_e32 v9, v9, v6
	;; [unrolled: 1-line block ×5, first 2 shown]
	v_sub_f16_e32 v6, v13, v6
	v_sub_f16_e32 v0, v1, v0
	v_mul_f16_e32 v14, 0x3846, v14
	v_sub_f16_e32 v19, v17, v18
	v_sub_f16_e32 v22, v18, v21
	v_add_f16_e32 v18, v18, v24
	v_sub_f16_e32 v7, v4, v5
	v_sub_f16_e32 v11, v5, v8
	v_add_f16_e32 v5, v5, v26
	v_mul_f16_e32 v16, 0x3846, v16
	v_mul_f16_e32 v13, 0xbb00, v6
	;; [unrolled: 1-line block ×3, first 2 shown]
	v_fma_f16 v15, v10, s21, v14
	v_mul_f16_e32 v19, 0x3a52, v19
	v_mul_f16_e32 v23, 0x2b26, v22
	v_add_f16_e32 v24, v29, v18
	v_mul_f16_e32 v7, 0x3a52, v7
	v_mul_f16_e32 v12, 0x2b26, v11
	v_add_f16_e32 v26, v45, v5
	v_fma_f16 v20, v3, s21, v16
	v_fma_f16 v10, v10, s17, -v13
	v_sub_f16_e32 v13, v21, v17
	v_sub_f16_e32 v4, v8, v4
	v_fma_f16 v1, v3, s17, -v1
	v_fma_f16 v0, v0, s14, -v16
	v_fma_f16 v18, v18, s20, v24
	v_fma_f16 v11, v11, s19, v7
	;; [unrolled: 1-line block ×4, first 2 shown]
	v_fma_f16 v17, v13, s16, -v19
	v_fma_f16 v7, v4, s16, -v7
	v_fma_f16 v1, v2, s18, v1
	v_fma_f16 v8, v13, s15, -v23
	v_fma_f16 v6, v6, s14, -v14
	v_fma_f16 v0, v2, s18, v0
	v_fma_f16 v2, v4, s15, -v12
	v_fma_f16 v10, v9, s18, v10
	v_add_f16_e32 v17, v17, v18
	v_add_f16_e32 v7, v7, v5
	;; [unrolled: 1-line block ×3, first 2 shown]
	v_fma_f16 v6, v9, s18, v6
	v_add_f16_e32 v2, v2, v5
	v_fma_f16 v22, v22, s19, v19
	v_add_f16_e32 v11, v11, v5
	v_sub_f16_e32 v3, v7, v1
	v_add_f16_e32 v4, v0, v2
	v_add_f16_e32 v5, v6, v8
	v_sub_f16_e32 v0, v2, v0
	v_sub_f16_e32 v2, v17, v10
	v_add_f16_e32 v1, v1, v7
	v_fma_f16 v15, v9, s18, v15
	v_add_f16_e32 v22, v22, v18
	v_add_f16_e32 v19, v10, v17
	v_sub_f16_e32 v9, v8, v6
	v_pack_b32_f16 v1, v1, v2
	v_pack_b32_f16 v0, v0, v5
	v_add_u32_e32 v2, 0xbb0, v66
	v_add_f16_e32 v25, v15, v22
	v_sub_f16_e32 v27, v11, v20
	v_sub_f16_e32 v6, v22, v15
	v_add_f16_e32 v7, v20, v11
	ds_write2_b32 v2, v1, v0 offset1:255
	v_pack_b32_f16 v0, v4, v9
	v_pack_b32_f16 v1, v3, v19
	v_add_u32_e32 v2, 0x13a8, v66
	v_pack_b32_f16 v8, v26, v24
	v_pack_b32_f16 v6, v7, v6
	v_add_u32_e32 v7, 0x3b8, v66
	ds_write2_b32 v2, v0, v1 offset1:255
	v_pack_b32_f16 v0, v27, v25
	ds_write2_b32 v7, v8, v6 offset1:255
	ds_write_b32 v66, v0 offset:7072
.LBB0_21:
	s_or_b64 exec, exec, s[4:5]
	s_waitcnt lgkmcnt(0)
	s_barrier
	s_and_b64 exec, exec, s[0:1]
	s_cbranch_execz .LBB0_23
; %bb.22:
	global_load_dword v8, v63, s[6:7]
	v_mad_u64_u32 v[0:1], s[0:1], s10, v166, 0
	v_mov_b32_e32 v2, 0x7c00
	v_mad_u64_u32 v[3:4], s[0:1], s8, v64, 0
	v_mad_u64_u32 v[5:6], s[0:1], s11, v166, v[1:2]
	ds_read_b32 v9, v66
	s_mov_b32 s14, 0x125b8012
	v_mad_u64_u32 v[6:7], s[0:1], s9, v64, v[4:5]
	v_mov_b32_e32 v1, v5
	s_waitcnt lgkmcnt(0)
	v_lshrrev_b32_e32 v7, 16, v9
	v_mov_b32_e32 v4, v6
	v_lshlrev_b64 v[0:1], 2, v[0:1]
	s_mov_b32 s15, 0x3f425b80
	v_mov_b32_e32 v10, s13
	v_lshlrev_b64 v[3:4], 2, v[3:4]
	s_movk_i32 s16, 0x1ff
	s_movk_i32 s10, 0xffe
	;; [unrolled: 1-line block ×3, first 2 shown]
	s_mov_b32 s17, 0x8000
	s_waitcnt vmcnt(0)
	v_mul_f16_sdwa v5, v7, v8 dst_sel:DWORD dst_unused:UNUSED_PAD src0_sel:DWORD src1_sel:WORD_1
	v_fma_f16 v5, v9, v8, v5
	v_mul_f16_sdwa v6, v9, v8 dst_sel:DWORD dst_unused:UNUSED_PAD src0_sel:DWORD src1_sel:WORD_1
	v_cvt_f32_f16_e32 v5, v5
	v_fma_f16 v6, v8, v7, -v6
	v_cvt_f32_f16_e32 v7, v6
	v_add_co_u32_e32 v9, vcc, s12, v0
	v_cvt_f64_f32_e32 v[5:6], v5
	v_cvt_f64_f32_e32 v[7:8], v7
	v_addc_co_u32_e32 v10, vcc, v10, v1, vcc
	v_mul_f64 v[5:6], v[5:6], s[14:15]
	v_mul_f64 v[0:1], v[7:8], s[14:15]
	v_add_co_u32_e32 v3, vcc, v9, v3
	v_addc_co_u32_e32 v4, vcc, v10, v4, vcc
	v_and_or_b32 v5, v6, s16, v5
	v_and_or_b32 v0, v1, s16, v0
	v_cmp_ne_u32_e32 vcc, 0, v5
	v_lshrrev_b32_e32 v7, 8, v6
	v_bfe_u32 v8, v6, 20, 11
	v_cndmask_b32_e64 v5, 0, 1, vcc
	v_cmp_ne_u32_e32 vcc, 0, v0
	v_lshrrev_b32_e32 v9, 8, v1
	v_bfe_u32 v10, v1, 20, 11
	v_sub_u32_e32 v11, 0x3f1, v8
	v_cndmask_b32_e64 v0, 0, 1, vcc
	v_and_or_b32 v5, v7, s10, v5
	v_sub_u32_e32 v12, 0x3f1, v10
	v_med3_i32 v7, v11, 0, 13
	v_and_or_b32 v0, v9, s10, v0
	v_or_b32_e32 v11, 0x1000, v5
	v_add_u32_e32 v8, 0xfffffc10, v8
	v_med3_i32 v9, v12, 0, 13
	v_cmp_ne_u32_e32 vcc, 0, v5
	v_or_b32_e32 v13, 0x1000, v0
	v_lshrrev_b32_e32 v15, v7, v11
	v_add_u32_e32 v10, 0xfffffc10, v10
	v_lshl_or_b32 v12, v8, 12, v5
	v_cndmask_b32_e64 v5, 0, 1, vcc
	v_cmp_ne_u32_e32 vcc, 0, v0
	v_lshrrev_b32_e32 v16, v9, v13
	v_lshlrev_b32_e32 v7, v7, v15
	v_lshl_or_b32 v14, v10, 12, v0
	v_cndmask_b32_e64 v0, 0, 1, vcc
	v_lshlrev_b32_e32 v9, v9, v16
	v_cmp_ne_u32_e32 vcc, v7, v11
	v_cndmask_b32_e64 v7, 0, 1, vcc
	v_cmp_ne_u32_e32 vcc, v9, v13
	v_cndmask_b32_e64 v9, 0, 1, vcc
	v_or_b32_e32 v7, v15, v7
	v_cmp_gt_i32_e32 vcc, 1, v8
	v_cndmask_b32_e32 v7, v12, v7, vcc
	v_or_b32_e32 v9, v16, v9
	v_cmp_gt_i32_e32 vcc, 1, v10
	v_and_b32_e32 v11, 7, v7
	v_cndmask_b32_e32 v9, v14, v9, vcc
	v_cmp_lt_i32_e32 vcc, 5, v11
	v_cmp_eq_u32_e64 s[0:1], 3, v11
	v_lshrrev_b32_e32 v7, 2, v7
	v_and_b32_e32 v12, 7, v9
	s_or_b64 vcc, s[0:1], vcc
	v_cmp_lt_i32_e64 s[2:3], 5, v12
	v_cmp_eq_u32_e64 s[4:5], 3, v12
	v_addc_co_u32_e32 v7, vcc, 0, v7, vcc
	v_lshrrev_b32_e32 v9, 2, v9
	s_or_b64 vcc, s[4:5], s[2:3]
	v_addc_co_u32_e32 v9, vcc, 0, v9, vcc
	v_cmp_gt_i32_e32 vcc, 31, v8
	v_cndmask_b32_e32 v7, v2, v7, vcc
	v_cmp_gt_i32_e32 vcc, 31, v10
	v_lshl_or_b32 v5, v5, 9, v2
	v_cndmask_b32_e32 v9, v2, v9, vcc
	v_cmp_eq_u32_e32 vcc, s18, v8
	v_lshrrev_b32_e32 v6, 16, v6
	v_lshl_or_b32 v0, v0, 9, v2
	v_cndmask_b32_e32 v5, v7, v5, vcc
	v_cmp_eq_u32_e32 vcc, s18, v10
	v_lshrrev_b32_e32 v1, 16, v1
	v_cndmask_b32_e32 v0, v9, v0, vcc
	v_and_or_b32 v5, v6, s17, v5
	v_and_or_b32 v0, v1, s17, v0
	v_and_b32_e32 v1, 0xffff, v5
	v_lshl_or_b32 v0, v0, 16, v1
	global_store_dword v[3:4], v0, off
	global_load_dword v5, v63, s[6:7] offset:420
	ds_read2_b32 v[0:1], v63 offset0:105 offset1:210
	s_mul_i32 s0, s9, 0x1a4
	s_mul_hi_u32 s9, s8, 0x1a4
	s_mulk_i32 s8, 0x1a4
	s_add_i32 s9, s9, s0
	s_waitcnt lgkmcnt(0)
	v_lshrrev_b32_e32 v6, 16, v0
	v_add_co_u32_e32 v3, vcc, s8, v3
	s_waitcnt vmcnt(0)
	v_mul_f16_sdwa v7, v6, v5 dst_sel:DWORD dst_unused:UNUSED_PAD src0_sel:DWORD src1_sel:WORD_1
	v_fma_f16 v7, v0, v5, v7
	v_mul_f16_sdwa v0, v0, v5 dst_sel:DWORD dst_unused:UNUSED_PAD src0_sel:DWORD src1_sel:WORD_1
	v_cvt_f32_f16_e32 v7, v7
	v_fma_f16 v0, v5, v6, -v0
	v_cvt_f32_f16_e32 v0, v0
	v_cvt_f64_f32_e32 v[5:6], v7
	v_cvt_f64_f32_e32 v[7:8], v0
	v_mov_b32_e32 v0, s9
	v_mul_f64 v[5:6], v[5:6], s[14:15]
	v_addc_co_u32_e32 v4, vcc, v4, v0, vcc
	v_mul_f64 v[7:8], v[7:8], s[14:15]
	v_and_or_b32 v0, v6, s16, v5
	v_cmp_ne_u32_e32 vcc, 0, v0
	v_lshrrev_b32_e32 v5, 8, v6
	v_and_or_b32 v7, v8, s16, v7
	v_bfe_u32 v9, v6, 20, 11
	v_cndmask_b32_e64 v0, 0, 1, vcc
	v_cmp_ne_u32_e32 vcc, 0, v7
	v_lshrrev_b32_e32 v10, 8, v8
	v_bfe_u32 v11, v8, 20, 11
	v_sub_u32_e32 v12, 0x3f1, v9
	v_cndmask_b32_e64 v7, 0, 1, vcc
	v_and_or_b32 v0, v5, s10, v0
	v_sub_u32_e32 v13, 0x3f1, v11
	v_med3_i32 v5, v12, 0, 13
	v_and_or_b32 v7, v10, s10, v7
	v_or_b32_e32 v12, 0x1000, v0
	v_add_u32_e32 v9, 0xfffffc10, v9
	v_med3_i32 v10, v13, 0, 13
	v_cmp_ne_u32_e32 vcc, 0, v0
	v_or_b32_e32 v14, 0x1000, v7
	v_lshrrev_b32_e32 v16, v5, v12
	v_add_u32_e32 v11, 0xfffffc10, v11
	v_lshl_or_b32 v13, v9, 12, v0
	v_cndmask_b32_e64 v0, 0, 1, vcc
	v_cmp_ne_u32_e32 vcc, 0, v7
	v_lshrrev_b32_e32 v17, v10, v14
	v_lshlrev_b32_e32 v5, v5, v16
	v_lshl_or_b32 v15, v11, 12, v7
	v_cndmask_b32_e64 v7, 0, 1, vcc
	v_lshlrev_b32_e32 v10, v10, v17
	v_cmp_ne_u32_e32 vcc, v5, v12
	v_cndmask_b32_e64 v5, 0, 1, vcc
	v_cmp_ne_u32_e32 vcc, v10, v14
	v_cndmask_b32_e64 v10, 0, 1, vcc
	v_or_b32_e32 v5, v16, v5
	v_cmp_gt_i32_e32 vcc, 1, v9
	v_cndmask_b32_e32 v5, v13, v5, vcc
	v_or_b32_e32 v10, v17, v10
	v_cmp_gt_i32_e32 vcc, 1, v11
	v_and_b32_e32 v12, 7, v5
	v_cndmask_b32_e32 v10, v15, v10, vcc
	v_cmp_lt_i32_e32 vcc, 5, v12
	v_cmp_eq_u32_e64 s[0:1], 3, v12
	v_lshrrev_b32_e32 v5, 2, v5
	v_and_b32_e32 v13, 7, v10
	s_or_b64 vcc, s[0:1], vcc
	v_cmp_lt_i32_e64 s[2:3], 5, v13
	v_cmp_eq_u32_e64 s[4:5], 3, v13
	v_addc_co_u32_e32 v5, vcc, 0, v5, vcc
	v_lshrrev_b32_e32 v10, 2, v10
	s_or_b64 vcc, s[4:5], s[2:3]
	v_addc_co_u32_e32 v10, vcc, 0, v10, vcc
	v_cmp_gt_i32_e32 vcc, 31, v9
	v_cndmask_b32_e32 v5, v2, v5, vcc
	v_cmp_gt_i32_e32 vcc, 31, v11
	v_lshl_or_b32 v0, v0, 9, v2
	v_cndmask_b32_e32 v10, v2, v10, vcc
	v_cmp_eq_u32_e32 vcc, s18, v9
	v_lshrrev_b32_e32 v6, 16, v6
	v_lshl_or_b32 v7, v7, 9, v2
	v_cndmask_b32_e32 v0, v5, v0, vcc
	v_cmp_eq_u32_e32 vcc, s18, v11
	v_lshrrev_b32_e32 v8, 16, v8
	v_cndmask_b32_e32 v5, v10, v7, vcc
	v_and_or_b32 v0, v6, s17, v0
	v_and_or_b32 v5, v8, s17, v5
	v_and_b32_e32 v0, 0xffff, v0
	v_lshl_or_b32 v0, v5, 16, v0
	global_store_dword v[3:4], v0, off
	global_load_dword v0, v63, s[6:7] offset:840
	v_lshrrev_b32_e32 v5, 16, v1
	v_mov_b32_e32 v7, s9
	v_add_co_u32_e32 v3, vcc, s8, v3
	v_addc_co_u32_e32 v4, vcc, v4, v7, vcc
	s_waitcnt vmcnt(0)
	v_mul_f16_sdwa v6, v5, v0 dst_sel:DWORD dst_unused:UNUSED_PAD src0_sel:DWORD src1_sel:WORD_1
	v_fma_f16 v6, v1, v0, v6
	v_mul_f16_sdwa v1, v1, v0 dst_sel:DWORD dst_unused:UNUSED_PAD src0_sel:DWORD src1_sel:WORD_1
	v_cvt_f32_f16_e32 v6, v6
	v_fma_f16 v0, v0, v5, -v1
	v_cvt_f32_f16_e32 v5, v0
	v_cvt_f64_f32_e32 v[0:1], v6
	v_cvt_f64_f32_e32 v[5:6], v5
	v_mul_f64 v[0:1], v[0:1], s[14:15]
	v_mul_f64 v[5:6], v[5:6], s[14:15]
	v_and_or_b32 v0, v1, s16, v0
	v_cmp_ne_u32_e32 vcc, 0, v0
	v_and_or_b32 v5, v6, s16, v5
	v_lshrrev_b32_e32 v7, 8, v1
	v_bfe_u32 v8, v1, 20, 11
	v_cndmask_b32_e64 v0, 0, 1, vcc
	v_cmp_ne_u32_e32 vcc, 0, v5
	v_lshrrev_b32_e32 v9, 8, v6
	v_bfe_u32 v10, v6, 20, 11
	v_sub_u32_e32 v11, 0x3f1, v8
	v_cndmask_b32_e64 v5, 0, 1, vcc
	v_and_or_b32 v0, v7, s10, v0
	v_sub_u32_e32 v12, 0x3f1, v10
	v_med3_i32 v7, v11, 0, 13
	v_and_or_b32 v5, v9, s10, v5
	v_or_b32_e32 v11, 0x1000, v0
	v_add_u32_e32 v8, 0xfffffc10, v8
	v_med3_i32 v9, v12, 0, 13
	v_cmp_ne_u32_e32 vcc, 0, v0
	v_or_b32_e32 v13, 0x1000, v5
	v_lshrrev_b32_e32 v15, v7, v11
	v_add_u32_e32 v10, 0xfffffc10, v10
	v_lshl_or_b32 v12, v8, 12, v0
	v_cndmask_b32_e64 v0, 0, 1, vcc
	v_cmp_ne_u32_e32 vcc, 0, v5
	v_lshrrev_b32_e32 v16, v9, v13
	v_lshlrev_b32_e32 v7, v7, v15
	v_lshl_or_b32 v14, v10, 12, v5
	v_cndmask_b32_e64 v5, 0, 1, vcc
	v_lshlrev_b32_e32 v9, v9, v16
	v_cmp_ne_u32_e32 vcc, v7, v11
	v_cndmask_b32_e64 v7, 0, 1, vcc
	v_cmp_ne_u32_e32 vcc, v9, v13
	v_cndmask_b32_e64 v9, 0, 1, vcc
	v_or_b32_e32 v7, v15, v7
	v_cmp_gt_i32_e32 vcc, 1, v8
	v_cndmask_b32_e32 v7, v12, v7, vcc
	v_or_b32_e32 v9, v16, v9
	v_cmp_gt_i32_e32 vcc, 1, v10
	v_and_b32_e32 v11, 7, v7
	v_cndmask_b32_e32 v9, v14, v9, vcc
	v_cmp_lt_i32_e32 vcc, 5, v11
	v_cmp_eq_u32_e64 s[0:1], 3, v11
	v_lshrrev_b32_e32 v7, 2, v7
	v_and_b32_e32 v12, 7, v9
	s_or_b64 vcc, s[0:1], vcc
	v_cmp_lt_i32_e64 s[2:3], 5, v12
	v_cmp_eq_u32_e64 s[4:5], 3, v12
	v_addc_co_u32_e32 v7, vcc, 0, v7, vcc
	v_lshrrev_b32_e32 v9, 2, v9
	s_or_b64 vcc, s[4:5], s[2:3]
	v_addc_co_u32_e32 v9, vcc, 0, v9, vcc
	v_cmp_gt_i32_e32 vcc, 31, v8
	v_cndmask_b32_e32 v7, v2, v7, vcc
	v_cmp_gt_i32_e32 vcc, 31, v10
	v_lshl_or_b32 v0, v0, 9, v2
	v_cndmask_b32_e32 v9, v2, v9, vcc
	v_cmp_eq_u32_e32 vcc, s18, v8
	v_lshrrev_b32_e32 v1, 16, v1
	v_lshl_or_b32 v5, v5, 9, v2
	v_cndmask_b32_e32 v0, v7, v0, vcc
	v_cmp_eq_u32_e32 vcc, s18, v10
	v_lshrrev_b32_e32 v6, 16, v6
	v_cndmask_b32_e32 v5, v9, v5, vcc
	v_and_or_b32 v0, v1, s17, v0
	v_and_or_b32 v1, v6, s17, v5
	v_and_b32_e32 v0, 0xffff, v0
	v_lshl_or_b32 v0, v1, 16, v0
	global_store_dword v[3:4], v0, off
	global_load_dword v5, v63, s[6:7] offset:1260
	v_add_u32_e32 v0, 0x400, v63
	ds_read2_b32 v[0:1], v0 offset0:59 offset1:164
	v_add_co_u32_e32 v3, vcc, s8, v3
	s_waitcnt lgkmcnt(0)
	v_lshrrev_b32_e32 v6, 16, v0
	s_waitcnt vmcnt(0)
	v_mul_f16_sdwa v7, v6, v5 dst_sel:DWORD dst_unused:UNUSED_PAD src0_sel:DWORD src1_sel:WORD_1
	v_fma_f16 v7, v0, v5, v7
	v_mul_f16_sdwa v0, v0, v5 dst_sel:DWORD dst_unused:UNUSED_PAD src0_sel:DWORD src1_sel:WORD_1
	v_cvt_f32_f16_e32 v7, v7
	v_fma_f16 v0, v5, v6, -v0
	v_cvt_f32_f16_e32 v0, v0
	v_cvt_f64_f32_e32 v[5:6], v7
	v_cvt_f64_f32_e32 v[7:8], v0
	v_mov_b32_e32 v0, s9
	v_mul_f64 v[5:6], v[5:6], s[14:15]
	v_addc_co_u32_e32 v4, vcc, v4, v0, vcc
	v_mul_f64 v[7:8], v[7:8], s[14:15]
	v_and_or_b32 v0, v6, s16, v5
	v_cmp_ne_u32_e32 vcc, 0, v0
	v_lshrrev_b32_e32 v5, 8, v6
	v_and_or_b32 v7, v8, s16, v7
	v_bfe_u32 v9, v6, 20, 11
	v_cndmask_b32_e64 v0, 0, 1, vcc
	v_cmp_ne_u32_e32 vcc, 0, v7
	v_lshrrev_b32_e32 v10, 8, v8
	v_bfe_u32 v11, v8, 20, 11
	v_sub_u32_e32 v12, 0x3f1, v9
	v_cndmask_b32_e64 v7, 0, 1, vcc
	v_and_or_b32 v0, v5, s10, v0
	v_sub_u32_e32 v13, 0x3f1, v11
	v_med3_i32 v5, v12, 0, 13
	v_and_or_b32 v7, v10, s10, v7
	v_or_b32_e32 v12, 0x1000, v0
	v_add_u32_e32 v9, 0xfffffc10, v9
	v_med3_i32 v10, v13, 0, 13
	v_cmp_ne_u32_e32 vcc, 0, v0
	v_or_b32_e32 v14, 0x1000, v7
	v_lshrrev_b32_e32 v16, v5, v12
	v_add_u32_e32 v11, 0xfffffc10, v11
	v_lshl_or_b32 v13, v9, 12, v0
	v_cndmask_b32_e64 v0, 0, 1, vcc
	v_cmp_ne_u32_e32 vcc, 0, v7
	v_lshrrev_b32_e32 v17, v10, v14
	v_lshlrev_b32_e32 v5, v5, v16
	v_lshl_or_b32 v15, v11, 12, v7
	v_cndmask_b32_e64 v7, 0, 1, vcc
	v_lshlrev_b32_e32 v10, v10, v17
	v_cmp_ne_u32_e32 vcc, v5, v12
	v_cndmask_b32_e64 v5, 0, 1, vcc
	v_cmp_ne_u32_e32 vcc, v10, v14
	v_cndmask_b32_e64 v10, 0, 1, vcc
	v_or_b32_e32 v5, v16, v5
	v_cmp_gt_i32_e32 vcc, 1, v9
	v_cndmask_b32_e32 v5, v13, v5, vcc
	v_or_b32_e32 v10, v17, v10
	v_cmp_gt_i32_e32 vcc, 1, v11
	v_and_b32_e32 v12, 7, v5
	v_cndmask_b32_e32 v10, v15, v10, vcc
	v_cmp_lt_i32_e32 vcc, 5, v12
	v_cmp_eq_u32_e64 s[0:1], 3, v12
	v_lshrrev_b32_e32 v5, 2, v5
	v_and_b32_e32 v13, 7, v10
	s_or_b64 vcc, s[0:1], vcc
	v_cmp_lt_i32_e64 s[2:3], 5, v13
	v_cmp_eq_u32_e64 s[4:5], 3, v13
	v_addc_co_u32_e32 v5, vcc, 0, v5, vcc
	v_lshrrev_b32_e32 v10, 2, v10
	s_or_b64 vcc, s[4:5], s[2:3]
	v_addc_co_u32_e32 v10, vcc, 0, v10, vcc
	v_cmp_gt_i32_e32 vcc, 31, v9
	v_cndmask_b32_e32 v5, v2, v5, vcc
	v_cmp_gt_i32_e32 vcc, 31, v11
	v_lshl_or_b32 v0, v0, 9, v2
	v_cndmask_b32_e32 v10, v2, v10, vcc
	v_cmp_eq_u32_e32 vcc, s18, v9
	v_lshrrev_b32_e32 v6, 16, v6
	v_lshl_or_b32 v7, v7, 9, v2
	v_cndmask_b32_e32 v0, v5, v0, vcc
	v_cmp_eq_u32_e32 vcc, s18, v11
	v_lshrrev_b32_e32 v8, 16, v8
	v_cndmask_b32_e32 v5, v10, v7, vcc
	v_and_or_b32 v0, v6, s17, v0
	v_and_or_b32 v5, v8, s17, v5
	v_and_b32_e32 v0, 0xffff, v0
	v_lshl_or_b32 v0, v5, 16, v0
	global_store_dword v[3:4], v0, off
	global_load_dword v0, v63, s[6:7] offset:1680
	v_lshrrev_b32_e32 v5, 16, v1
	v_mov_b32_e32 v7, s9
	v_add_co_u32_e32 v3, vcc, s8, v3
	v_addc_co_u32_e32 v4, vcc, v4, v7, vcc
	s_waitcnt vmcnt(0)
	v_mul_f16_sdwa v6, v5, v0 dst_sel:DWORD dst_unused:UNUSED_PAD src0_sel:DWORD src1_sel:WORD_1
	v_fma_f16 v6, v1, v0, v6
	v_mul_f16_sdwa v1, v1, v0 dst_sel:DWORD dst_unused:UNUSED_PAD src0_sel:DWORD src1_sel:WORD_1
	v_cvt_f32_f16_e32 v6, v6
	v_fma_f16 v0, v0, v5, -v1
	v_cvt_f32_f16_e32 v5, v0
	v_cvt_f64_f32_e32 v[0:1], v6
	v_cvt_f64_f32_e32 v[5:6], v5
	v_mul_f64 v[0:1], v[0:1], s[14:15]
	v_mul_f64 v[5:6], v[5:6], s[14:15]
	v_and_or_b32 v0, v1, s16, v0
	v_cmp_ne_u32_e32 vcc, 0, v0
	v_and_or_b32 v5, v6, s16, v5
	v_lshrrev_b32_e32 v7, 8, v1
	v_bfe_u32 v8, v1, 20, 11
	v_cndmask_b32_e64 v0, 0, 1, vcc
	v_cmp_ne_u32_e32 vcc, 0, v5
	v_lshrrev_b32_e32 v9, 8, v6
	v_bfe_u32 v10, v6, 20, 11
	v_sub_u32_e32 v11, 0x3f1, v8
	v_cndmask_b32_e64 v5, 0, 1, vcc
	v_and_or_b32 v0, v7, s10, v0
	v_sub_u32_e32 v12, 0x3f1, v10
	v_med3_i32 v7, v11, 0, 13
	v_and_or_b32 v5, v9, s10, v5
	v_or_b32_e32 v11, 0x1000, v0
	v_add_u32_e32 v8, 0xfffffc10, v8
	v_med3_i32 v9, v12, 0, 13
	v_cmp_ne_u32_e32 vcc, 0, v0
	v_or_b32_e32 v13, 0x1000, v5
	v_lshrrev_b32_e32 v15, v7, v11
	v_add_u32_e32 v10, 0xfffffc10, v10
	v_lshl_or_b32 v12, v8, 12, v0
	v_cndmask_b32_e64 v0, 0, 1, vcc
	v_cmp_ne_u32_e32 vcc, 0, v5
	v_lshrrev_b32_e32 v16, v9, v13
	v_lshlrev_b32_e32 v7, v7, v15
	v_lshl_or_b32 v14, v10, 12, v5
	v_cndmask_b32_e64 v5, 0, 1, vcc
	v_lshlrev_b32_e32 v9, v9, v16
	v_cmp_ne_u32_e32 vcc, v7, v11
	v_cndmask_b32_e64 v7, 0, 1, vcc
	v_cmp_ne_u32_e32 vcc, v9, v13
	v_cndmask_b32_e64 v9, 0, 1, vcc
	v_or_b32_e32 v7, v15, v7
	v_cmp_gt_i32_e32 vcc, 1, v8
	v_cndmask_b32_e32 v7, v12, v7, vcc
	v_or_b32_e32 v9, v16, v9
	v_cmp_gt_i32_e32 vcc, 1, v10
	v_and_b32_e32 v11, 7, v7
	v_cndmask_b32_e32 v9, v14, v9, vcc
	v_cmp_lt_i32_e32 vcc, 5, v11
	v_cmp_eq_u32_e64 s[0:1], 3, v11
	v_lshrrev_b32_e32 v7, 2, v7
	v_and_b32_e32 v12, 7, v9
	s_or_b64 vcc, s[0:1], vcc
	v_cmp_lt_i32_e64 s[2:3], 5, v12
	v_cmp_eq_u32_e64 s[4:5], 3, v12
	v_addc_co_u32_e32 v7, vcc, 0, v7, vcc
	v_lshrrev_b32_e32 v9, 2, v9
	s_or_b64 vcc, s[4:5], s[2:3]
	v_addc_co_u32_e32 v9, vcc, 0, v9, vcc
	v_cmp_gt_i32_e32 vcc, 31, v8
	v_cndmask_b32_e32 v7, v2, v7, vcc
	v_cmp_gt_i32_e32 vcc, 31, v10
	v_lshl_or_b32 v0, v0, 9, v2
	v_cndmask_b32_e32 v9, v2, v9, vcc
	v_cmp_eq_u32_e32 vcc, s18, v8
	v_lshrrev_b32_e32 v1, 16, v1
	v_lshl_or_b32 v5, v5, 9, v2
	v_cndmask_b32_e32 v0, v7, v0, vcc
	v_cmp_eq_u32_e32 vcc, s18, v10
	v_lshrrev_b32_e32 v6, 16, v6
	v_cndmask_b32_e32 v5, v9, v5, vcc
	v_and_or_b32 v0, v1, s17, v0
	v_and_or_b32 v1, v6, s17, v5
	v_and_b32_e32 v0, 0xffff, v0
	v_lshl_or_b32 v0, v1, 16, v0
	global_store_dword v[3:4], v0, off
	global_load_dword v5, v63, s[6:7] offset:2100
	v_add_u32_e32 v0, 0x800, v63
	ds_read2_b32 v[0:1], v0 offset0:13 offset1:118
	v_add_co_u32_e32 v3, vcc, s8, v3
	s_waitcnt lgkmcnt(0)
	v_lshrrev_b32_e32 v6, 16, v0
	s_waitcnt vmcnt(0)
	v_mul_f16_sdwa v7, v6, v5 dst_sel:DWORD dst_unused:UNUSED_PAD src0_sel:DWORD src1_sel:WORD_1
	v_fma_f16 v7, v0, v5, v7
	v_mul_f16_sdwa v0, v0, v5 dst_sel:DWORD dst_unused:UNUSED_PAD src0_sel:DWORD src1_sel:WORD_1
	v_cvt_f32_f16_e32 v7, v7
	v_fma_f16 v0, v5, v6, -v0
	v_cvt_f32_f16_e32 v0, v0
	v_cvt_f64_f32_e32 v[5:6], v7
	v_cvt_f64_f32_e32 v[7:8], v0
	v_mov_b32_e32 v0, s9
	v_mul_f64 v[5:6], v[5:6], s[14:15]
	v_addc_co_u32_e32 v4, vcc, v4, v0, vcc
	v_mul_f64 v[7:8], v[7:8], s[14:15]
	v_and_or_b32 v0, v6, s16, v5
	v_cmp_ne_u32_e32 vcc, 0, v0
	v_lshrrev_b32_e32 v5, 8, v6
	v_and_or_b32 v7, v8, s16, v7
	v_bfe_u32 v9, v6, 20, 11
	v_cndmask_b32_e64 v0, 0, 1, vcc
	v_cmp_ne_u32_e32 vcc, 0, v7
	v_lshrrev_b32_e32 v10, 8, v8
	v_bfe_u32 v11, v8, 20, 11
	v_sub_u32_e32 v12, 0x3f1, v9
	v_cndmask_b32_e64 v7, 0, 1, vcc
	v_and_or_b32 v0, v5, s10, v0
	v_sub_u32_e32 v13, 0x3f1, v11
	v_med3_i32 v5, v12, 0, 13
	v_and_or_b32 v7, v10, s10, v7
	v_or_b32_e32 v12, 0x1000, v0
	v_add_u32_e32 v9, 0xfffffc10, v9
	v_med3_i32 v10, v13, 0, 13
	v_cmp_ne_u32_e32 vcc, 0, v0
	v_or_b32_e32 v14, 0x1000, v7
	v_lshrrev_b32_e32 v16, v5, v12
	v_add_u32_e32 v11, 0xfffffc10, v11
	v_lshl_or_b32 v13, v9, 12, v0
	v_cndmask_b32_e64 v0, 0, 1, vcc
	v_cmp_ne_u32_e32 vcc, 0, v7
	v_lshrrev_b32_e32 v17, v10, v14
	v_lshlrev_b32_e32 v5, v5, v16
	v_lshl_or_b32 v15, v11, 12, v7
	v_cndmask_b32_e64 v7, 0, 1, vcc
	v_lshlrev_b32_e32 v10, v10, v17
	v_cmp_ne_u32_e32 vcc, v5, v12
	v_cndmask_b32_e64 v5, 0, 1, vcc
	v_cmp_ne_u32_e32 vcc, v10, v14
	v_cndmask_b32_e64 v10, 0, 1, vcc
	v_or_b32_e32 v5, v16, v5
	v_cmp_gt_i32_e32 vcc, 1, v9
	v_cndmask_b32_e32 v5, v13, v5, vcc
	v_or_b32_e32 v10, v17, v10
	v_cmp_gt_i32_e32 vcc, 1, v11
	v_and_b32_e32 v12, 7, v5
	v_cndmask_b32_e32 v10, v15, v10, vcc
	v_cmp_lt_i32_e32 vcc, 5, v12
	v_cmp_eq_u32_e64 s[0:1], 3, v12
	v_lshrrev_b32_e32 v5, 2, v5
	v_and_b32_e32 v13, 7, v10
	s_or_b64 vcc, s[0:1], vcc
	v_cmp_lt_i32_e64 s[2:3], 5, v13
	v_cmp_eq_u32_e64 s[4:5], 3, v13
	v_addc_co_u32_e32 v5, vcc, 0, v5, vcc
	v_lshrrev_b32_e32 v10, 2, v10
	s_or_b64 vcc, s[4:5], s[2:3]
	v_addc_co_u32_e32 v10, vcc, 0, v10, vcc
	v_cmp_gt_i32_e32 vcc, 31, v9
	v_cndmask_b32_e32 v5, v2, v5, vcc
	v_cmp_gt_i32_e32 vcc, 31, v11
	v_lshl_or_b32 v0, v0, 9, v2
	v_cndmask_b32_e32 v10, v2, v10, vcc
	v_cmp_eq_u32_e32 vcc, s18, v9
	v_lshrrev_b32_e32 v6, 16, v6
	v_lshl_or_b32 v7, v7, 9, v2
	v_cndmask_b32_e32 v0, v5, v0, vcc
	v_cmp_eq_u32_e32 vcc, s18, v11
	v_lshrrev_b32_e32 v8, 16, v8
	v_cndmask_b32_e32 v5, v10, v7, vcc
	v_and_or_b32 v0, v6, s17, v0
	v_and_or_b32 v5, v8, s17, v5
	v_and_b32_e32 v0, 0xffff, v0
	v_lshl_or_b32 v0, v5, 16, v0
	global_store_dword v[3:4], v0, off
	global_load_dword v0, v63, s[6:7] offset:2520
	v_lshrrev_b32_e32 v5, 16, v1
	v_mov_b32_e32 v7, s9
	v_add_co_u32_e32 v3, vcc, s8, v3
	v_addc_co_u32_e32 v4, vcc, v4, v7, vcc
	s_waitcnt vmcnt(0)
	v_mul_f16_sdwa v6, v5, v0 dst_sel:DWORD dst_unused:UNUSED_PAD src0_sel:DWORD src1_sel:WORD_1
	v_fma_f16 v6, v1, v0, v6
	v_mul_f16_sdwa v1, v1, v0 dst_sel:DWORD dst_unused:UNUSED_PAD src0_sel:DWORD src1_sel:WORD_1
	v_cvt_f32_f16_e32 v6, v6
	v_fma_f16 v0, v0, v5, -v1
	v_cvt_f32_f16_e32 v5, v0
	v_cvt_f64_f32_e32 v[0:1], v6
	v_cvt_f64_f32_e32 v[5:6], v5
	v_mul_f64 v[0:1], v[0:1], s[14:15]
	v_mul_f64 v[5:6], v[5:6], s[14:15]
	v_and_or_b32 v0, v1, s16, v0
	v_cmp_ne_u32_e32 vcc, 0, v0
	v_and_or_b32 v5, v6, s16, v5
	v_lshrrev_b32_e32 v7, 8, v1
	v_bfe_u32 v8, v1, 20, 11
	v_cndmask_b32_e64 v0, 0, 1, vcc
	v_cmp_ne_u32_e32 vcc, 0, v5
	v_lshrrev_b32_e32 v9, 8, v6
	v_bfe_u32 v10, v6, 20, 11
	v_sub_u32_e32 v11, 0x3f1, v8
	v_cndmask_b32_e64 v5, 0, 1, vcc
	v_and_or_b32 v0, v7, s10, v0
	v_sub_u32_e32 v12, 0x3f1, v10
	v_med3_i32 v7, v11, 0, 13
	v_and_or_b32 v5, v9, s10, v5
	v_or_b32_e32 v11, 0x1000, v0
	v_add_u32_e32 v8, 0xfffffc10, v8
	v_med3_i32 v9, v12, 0, 13
	v_cmp_ne_u32_e32 vcc, 0, v0
	v_or_b32_e32 v13, 0x1000, v5
	v_lshrrev_b32_e32 v15, v7, v11
	v_add_u32_e32 v10, 0xfffffc10, v10
	v_lshl_or_b32 v12, v8, 12, v0
	v_cndmask_b32_e64 v0, 0, 1, vcc
	v_cmp_ne_u32_e32 vcc, 0, v5
	v_lshrrev_b32_e32 v16, v9, v13
	v_lshlrev_b32_e32 v7, v7, v15
	v_lshl_or_b32 v14, v10, 12, v5
	v_cndmask_b32_e64 v5, 0, 1, vcc
	v_lshlrev_b32_e32 v9, v9, v16
	v_cmp_ne_u32_e32 vcc, v7, v11
	v_cndmask_b32_e64 v7, 0, 1, vcc
	v_cmp_ne_u32_e32 vcc, v9, v13
	v_cndmask_b32_e64 v9, 0, 1, vcc
	v_or_b32_e32 v7, v15, v7
	v_cmp_gt_i32_e32 vcc, 1, v8
	v_cndmask_b32_e32 v7, v12, v7, vcc
	v_or_b32_e32 v9, v16, v9
	v_cmp_gt_i32_e32 vcc, 1, v10
	v_and_b32_e32 v11, 7, v7
	v_cndmask_b32_e32 v9, v14, v9, vcc
	v_cmp_lt_i32_e32 vcc, 5, v11
	v_cmp_eq_u32_e64 s[0:1], 3, v11
	v_lshrrev_b32_e32 v7, 2, v7
	v_and_b32_e32 v12, 7, v9
	s_or_b64 vcc, s[0:1], vcc
	v_cmp_lt_i32_e64 s[2:3], 5, v12
	v_cmp_eq_u32_e64 s[4:5], 3, v12
	v_addc_co_u32_e32 v7, vcc, 0, v7, vcc
	v_lshrrev_b32_e32 v9, 2, v9
	s_or_b64 vcc, s[4:5], s[2:3]
	v_addc_co_u32_e32 v9, vcc, 0, v9, vcc
	v_cmp_gt_i32_e32 vcc, 31, v8
	v_cndmask_b32_e32 v7, v2, v7, vcc
	v_cmp_gt_i32_e32 vcc, 31, v10
	v_lshl_or_b32 v0, v0, 9, v2
	v_cndmask_b32_e32 v9, v2, v9, vcc
	v_cmp_eq_u32_e32 vcc, s18, v8
	v_lshrrev_b32_e32 v1, 16, v1
	v_lshl_or_b32 v5, v5, 9, v2
	v_cndmask_b32_e32 v0, v7, v0, vcc
	v_cmp_eq_u32_e32 vcc, s18, v10
	v_lshrrev_b32_e32 v6, 16, v6
	v_cndmask_b32_e32 v5, v9, v5, vcc
	v_and_or_b32 v0, v1, s17, v0
	v_and_or_b32 v1, v6, s17, v5
	v_and_b32_e32 v0, 0xffff, v0
	v_lshl_or_b32 v0, v1, 16, v0
	global_store_dword v[3:4], v0, off
	global_load_dword v5, v63, s[6:7] offset:2940
	v_add_u32_e32 v0, 0xa00, v63
	ds_read2_b32 v[0:1], v0 offset0:95 offset1:200
	v_add_co_u32_e32 v3, vcc, s8, v3
	s_waitcnt lgkmcnt(0)
	v_lshrrev_b32_e32 v6, 16, v0
	s_waitcnt vmcnt(0)
	v_mul_f16_sdwa v7, v6, v5 dst_sel:DWORD dst_unused:UNUSED_PAD src0_sel:DWORD src1_sel:WORD_1
	v_fma_f16 v7, v0, v5, v7
	v_mul_f16_sdwa v0, v0, v5 dst_sel:DWORD dst_unused:UNUSED_PAD src0_sel:DWORD src1_sel:WORD_1
	v_cvt_f32_f16_e32 v7, v7
	v_fma_f16 v0, v5, v6, -v0
	v_cvt_f32_f16_e32 v0, v0
	v_cvt_f64_f32_e32 v[5:6], v7
	v_cvt_f64_f32_e32 v[7:8], v0
	v_mov_b32_e32 v0, s9
	v_mul_f64 v[5:6], v[5:6], s[14:15]
	v_addc_co_u32_e32 v4, vcc, v4, v0, vcc
	v_mul_f64 v[7:8], v[7:8], s[14:15]
	v_and_or_b32 v0, v6, s16, v5
	v_cmp_ne_u32_e32 vcc, 0, v0
	v_lshrrev_b32_e32 v5, 8, v6
	v_and_or_b32 v7, v8, s16, v7
	v_bfe_u32 v9, v6, 20, 11
	v_cndmask_b32_e64 v0, 0, 1, vcc
	v_cmp_ne_u32_e32 vcc, 0, v7
	v_lshrrev_b32_e32 v10, 8, v8
	v_bfe_u32 v11, v8, 20, 11
	v_sub_u32_e32 v12, 0x3f1, v9
	v_cndmask_b32_e64 v7, 0, 1, vcc
	v_and_or_b32 v0, v5, s10, v0
	v_sub_u32_e32 v13, 0x3f1, v11
	v_med3_i32 v5, v12, 0, 13
	v_and_or_b32 v7, v10, s10, v7
	v_or_b32_e32 v12, 0x1000, v0
	v_add_u32_e32 v9, 0xfffffc10, v9
	v_med3_i32 v10, v13, 0, 13
	v_cmp_ne_u32_e32 vcc, 0, v0
	v_or_b32_e32 v14, 0x1000, v7
	v_lshrrev_b32_e32 v16, v5, v12
	v_add_u32_e32 v11, 0xfffffc10, v11
	v_lshl_or_b32 v13, v9, 12, v0
	v_cndmask_b32_e64 v0, 0, 1, vcc
	v_cmp_ne_u32_e32 vcc, 0, v7
	v_lshrrev_b32_e32 v17, v10, v14
	v_lshlrev_b32_e32 v5, v5, v16
	v_lshl_or_b32 v15, v11, 12, v7
	v_cndmask_b32_e64 v7, 0, 1, vcc
	v_lshlrev_b32_e32 v10, v10, v17
	v_cmp_ne_u32_e32 vcc, v5, v12
	v_cndmask_b32_e64 v5, 0, 1, vcc
	v_cmp_ne_u32_e32 vcc, v10, v14
	v_cndmask_b32_e64 v10, 0, 1, vcc
	v_or_b32_e32 v5, v16, v5
	v_cmp_gt_i32_e32 vcc, 1, v9
	v_cndmask_b32_e32 v5, v13, v5, vcc
	v_or_b32_e32 v10, v17, v10
	v_cmp_gt_i32_e32 vcc, 1, v11
	v_and_b32_e32 v12, 7, v5
	v_cndmask_b32_e32 v10, v15, v10, vcc
	v_cmp_lt_i32_e32 vcc, 5, v12
	v_cmp_eq_u32_e64 s[0:1], 3, v12
	v_lshrrev_b32_e32 v5, 2, v5
	v_and_b32_e32 v13, 7, v10
	s_or_b64 vcc, s[0:1], vcc
	v_cmp_lt_i32_e64 s[2:3], 5, v13
	v_cmp_eq_u32_e64 s[4:5], 3, v13
	v_addc_co_u32_e32 v5, vcc, 0, v5, vcc
	v_lshrrev_b32_e32 v10, 2, v10
	s_or_b64 vcc, s[4:5], s[2:3]
	v_addc_co_u32_e32 v10, vcc, 0, v10, vcc
	v_cmp_gt_i32_e32 vcc, 31, v9
	v_cndmask_b32_e32 v5, v2, v5, vcc
	v_cmp_gt_i32_e32 vcc, 31, v11
	v_lshl_or_b32 v0, v0, 9, v2
	v_cndmask_b32_e32 v10, v2, v10, vcc
	v_cmp_eq_u32_e32 vcc, s18, v9
	v_lshrrev_b32_e32 v6, 16, v6
	v_lshl_or_b32 v7, v7, 9, v2
	v_cndmask_b32_e32 v0, v5, v0, vcc
	v_cmp_eq_u32_e32 vcc, s18, v11
	v_lshrrev_b32_e32 v8, 16, v8
	v_cndmask_b32_e32 v5, v10, v7, vcc
	v_and_or_b32 v0, v6, s17, v0
	v_and_or_b32 v5, v8, s17, v5
	v_and_b32_e32 v0, 0xffff, v0
	v_lshl_or_b32 v0, v5, 16, v0
	global_store_dword v[3:4], v0, off
	global_load_dword v0, v63, s[6:7] offset:3360
	v_lshrrev_b32_e32 v5, 16, v1
	v_mov_b32_e32 v7, s9
	v_add_co_u32_e32 v3, vcc, s8, v3
	v_addc_co_u32_e32 v4, vcc, v4, v7, vcc
	s_waitcnt vmcnt(0)
	v_mul_f16_sdwa v6, v5, v0 dst_sel:DWORD dst_unused:UNUSED_PAD src0_sel:DWORD src1_sel:WORD_1
	v_fma_f16 v6, v1, v0, v6
	v_mul_f16_sdwa v1, v1, v0 dst_sel:DWORD dst_unused:UNUSED_PAD src0_sel:DWORD src1_sel:WORD_1
	v_cvt_f32_f16_e32 v6, v6
	v_fma_f16 v0, v0, v5, -v1
	v_cvt_f32_f16_e32 v5, v0
	v_cvt_f64_f32_e32 v[0:1], v6
	v_cvt_f64_f32_e32 v[5:6], v5
	v_mul_f64 v[0:1], v[0:1], s[14:15]
	v_mul_f64 v[5:6], v[5:6], s[14:15]
	v_and_or_b32 v0, v1, s16, v0
	v_cmp_ne_u32_e32 vcc, 0, v0
	v_and_or_b32 v5, v6, s16, v5
	v_lshrrev_b32_e32 v7, 8, v1
	v_bfe_u32 v8, v1, 20, 11
	v_cndmask_b32_e64 v0, 0, 1, vcc
	v_cmp_ne_u32_e32 vcc, 0, v5
	v_lshrrev_b32_e32 v9, 8, v6
	v_bfe_u32 v10, v6, 20, 11
	v_sub_u32_e32 v11, 0x3f1, v8
	v_cndmask_b32_e64 v5, 0, 1, vcc
	v_and_or_b32 v0, v7, s10, v0
	v_sub_u32_e32 v12, 0x3f1, v10
	v_med3_i32 v7, v11, 0, 13
	v_and_or_b32 v5, v9, s10, v5
	v_or_b32_e32 v11, 0x1000, v0
	v_add_u32_e32 v8, 0xfffffc10, v8
	v_med3_i32 v9, v12, 0, 13
	v_cmp_ne_u32_e32 vcc, 0, v0
	v_or_b32_e32 v13, 0x1000, v5
	v_lshrrev_b32_e32 v15, v7, v11
	v_add_u32_e32 v10, 0xfffffc10, v10
	v_lshl_or_b32 v12, v8, 12, v0
	v_cndmask_b32_e64 v0, 0, 1, vcc
	v_cmp_ne_u32_e32 vcc, 0, v5
	v_lshrrev_b32_e32 v16, v9, v13
	v_lshlrev_b32_e32 v7, v7, v15
	v_lshl_or_b32 v14, v10, 12, v5
	v_cndmask_b32_e64 v5, 0, 1, vcc
	v_lshlrev_b32_e32 v9, v9, v16
	v_cmp_ne_u32_e32 vcc, v7, v11
	v_cndmask_b32_e64 v7, 0, 1, vcc
	v_cmp_ne_u32_e32 vcc, v9, v13
	v_cndmask_b32_e64 v9, 0, 1, vcc
	v_or_b32_e32 v7, v15, v7
	v_cmp_gt_i32_e32 vcc, 1, v8
	v_cndmask_b32_e32 v7, v12, v7, vcc
	v_or_b32_e32 v9, v16, v9
	v_cmp_gt_i32_e32 vcc, 1, v10
	v_and_b32_e32 v11, 7, v7
	v_cndmask_b32_e32 v9, v14, v9, vcc
	v_cmp_lt_i32_e32 vcc, 5, v11
	v_cmp_eq_u32_e64 s[0:1], 3, v11
	v_lshrrev_b32_e32 v7, 2, v7
	v_and_b32_e32 v12, 7, v9
	s_or_b64 vcc, s[0:1], vcc
	v_cmp_lt_i32_e64 s[2:3], 5, v12
	v_cmp_eq_u32_e64 s[4:5], 3, v12
	v_addc_co_u32_e32 v7, vcc, 0, v7, vcc
	v_lshrrev_b32_e32 v9, 2, v9
	s_or_b64 vcc, s[4:5], s[2:3]
	v_addc_co_u32_e32 v9, vcc, 0, v9, vcc
	v_cmp_gt_i32_e32 vcc, 31, v8
	v_cndmask_b32_e32 v7, v2, v7, vcc
	v_cmp_gt_i32_e32 vcc, 31, v10
	v_lshl_or_b32 v0, v0, 9, v2
	v_cndmask_b32_e32 v9, v2, v9, vcc
	v_cmp_eq_u32_e32 vcc, s18, v8
	v_lshrrev_b32_e32 v1, 16, v1
	v_lshl_or_b32 v5, v5, 9, v2
	v_cndmask_b32_e32 v0, v7, v0, vcc
	v_cmp_eq_u32_e32 vcc, s18, v10
	v_lshrrev_b32_e32 v6, 16, v6
	v_cndmask_b32_e32 v5, v9, v5, vcc
	v_and_or_b32 v0, v1, s17, v0
	v_and_or_b32 v1, v6, s17, v5
	v_and_b32_e32 v0, 0xffff, v0
	v_lshl_or_b32 v0, v1, 16, v0
	global_store_dword v[3:4], v0, off
	global_load_dword v0, v63, s[6:7] offset:3780
	v_add_u32_e32 v1, 0xe00, v63
	ds_read2_b32 v[5:6], v1 offset0:49 offset1:154
	v_mov_b32_e32 v7, s7
	v_add_co_u32_e32 v11, vcc, s6, v63
	v_addc_co_u32_e32 v12, vcc, 0, v7, vcc
	s_waitcnt lgkmcnt(0)
	v_lshrrev_b32_e32 v1, 16, v5
	s_movk_i32 s0, 0x1000
	v_mov_b32_e32 v13, s9
	s_waitcnt vmcnt(0)
	v_mul_f16_sdwa v8, v1, v0 dst_sel:DWORD dst_unused:UNUSED_PAD src0_sel:DWORD src1_sel:WORD_1
	v_fma_f16 v8, v5, v0, v8
	v_mul_f16_sdwa v5, v5, v0 dst_sel:DWORD dst_unused:UNUSED_PAD src0_sel:DWORD src1_sel:WORD_1
	v_cvt_f32_f16_e32 v8, v8
	v_fma_f16 v0, v0, v1, -v5
	v_cvt_f32_f16_e32 v5, v0
	v_cvt_f64_f32_e32 v[0:1], v8
	v_cvt_f64_f32_e32 v[7:8], v5
	v_mul_f64 v[9:10], v[0:1], s[14:15]
	v_add_co_u32_e32 v0, vcc, s0, v11
	v_mul_f64 v[7:8], v[7:8], s[14:15]
	v_addc_co_u32_e32 v1, vcc, 0, v12, vcc
	v_add_co_u32_e32 v3, vcc, s8, v3
	v_addc_co_u32_e32 v4, vcc, v4, v13, vcc
	v_and_or_b32 v5, v10, s16, v9
	v_and_or_b32 v7, v8, s16, v7
	v_cmp_ne_u32_e32 vcc, 0, v5
	v_lshrrev_b32_e32 v9, 8, v10
	v_bfe_u32 v11, v10, 20, 11
	v_cndmask_b32_e64 v5, 0, 1, vcc
	v_cmp_ne_u32_e32 vcc, 0, v7
	v_lshrrev_b32_e32 v12, 8, v8
	v_bfe_u32 v13, v8, 20, 11
	v_sub_u32_e32 v14, 0x3f1, v11
	v_cndmask_b32_e64 v7, 0, 1, vcc
	v_and_or_b32 v5, v9, s10, v5
	v_sub_u32_e32 v15, 0x3f1, v13
	v_med3_i32 v9, v14, 0, 13
	v_and_or_b32 v7, v12, s10, v7
	v_or_b32_e32 v14, 0x1000, v5
	v_add_u32_e32 v11, 0xfffffc10, v11
	v_med3_i32 v12, v15, 0, 13
	v_cmp_ne_u32_e32 vcc, 0, v5
	v_or_b32_e32 v16, 0x1000, v7
	v_lshrrev_b32_e32 v18, v9, v14
	v_add_u32_e32 v13, 0xfffffc10, v13
	v_lshl_or_b32 v15, v11, 12, v5
	v_cndmask_b32_e64 v5, 0, 1, vcc
	v_cmp_ne_u32_e32 vcc, 0, v7
	v_lshrrev_b32_e32 v19, v12, v16
	v_lshlrev_b32_e32 v9, v9, v18
	v_lshl_or_b32 v17, v13, 12, v7
	v_cndmask_b32_e64 v7, 0, 1, vcc
	v_lshlrev_b32_e32 v12, v12, v19
	v_cmp_ne_u32_e32 vcc, v9, v14
	v_cndmask_b32_e64 v9, 0, 1, vcc
	v_cmp_ne_u32_e32 vcc, v12, v16
	v_cndmask_b32_e64 v12, 0, 1, vcc
	v_or_b32_e32 v9, v18, v9
	v_cmp_gt_i32_e32 vcc, 1, v11
	v_cndmask_b32_e32 v9, v15, v9, vcc
	v_or_b32_e32 v12, v19, v12
	v_cmp_gt_i32_e32 vcc, 1, v13
	v_and_b32_e32 v14, 7, v9
	v_cndmask_b32_e32 v12, v17, v12, vcc
	v_cmp_lt_i32_e32 vcc, 5, v14
	v_cmp_eq_u32_e64 s[0:1], 3, v14
	v_lshrrev_b32_e32 v9, 2, v9
	v_and_b32_e32 v15, 7, v12
	s_or_b64 vcc, s[0:1], vcc
	v_cmp_lt_i32_e64 s[2:3], 5, v15
	v_cmp_eq_u32_e64 s[4:5], 3, v15
	v_addc_co_u32_e32 v9, vcc, 0, v9, vcc
	v_lshrrev_b32_e32 v12, 2, v12
	s_or_b64 vcc, s[4:5], s[2:3]
	v_addc_co_u32_e32 v12, vcc, 0, v12, vcc
	v_cmp_gt_i32_e32 vcc, 31, v11
	v_cndmask_b32_e32 v9, v2, v9, vcc
	v_cmp_gt_i32_e32 vcc, 31, v13
	v_lshl_or_b32 v5, v5, 9, v2
	v_cndmask_b32_e32 v12, v2, v12, vcc
	v_cmp_eq_u32_e32 vcc, s18, v11
	v_lshrrev_b32_e32 v10, 16, v10
	v_lshl_or_b32 v7, v7, 9, v2
	v_cndmask_b32_e32 v5, v9, v5, vcc
	v_cmp_eq_u32_e32 vcc, s18, v13
	v_lshrrev_b32_e32 v8, 16, v8
	v_cndmask_b32_e32 v7, v12, v7, vcc
	v_and_or_b32 v5, v10, s17, v5
	v_and_or_b32 v7, v8, s17, v7
	v_and_b32_e32 v5, 0xffff, v5
	v_lshl_or_b32 v5, v7, 16, v5
	global_store_dword v[3:4], v5, off
	global_load_dword v5, v[0:1], off offset:104
	v_lshrrev_b32_e32 v7, 16, v6
	v_mov_b32_e32 v9, s9
	v_add_co_u32_e32 v3, vcc, s8, v3
	v_addc_co_u32_e32 v4, vcc, v4, v9, vcc
	s_waitcnt vmcnt(0)
	v_mul_f16_sdwa v8, v7, v5 dst_sel:DWORD dst_unused:UNUSED_PAD src0_sel:DWORD src1_sel:WORD_1
	v_fma_f16 v8, v6, v5, v8
	v_mul_f16_sdwa v6, v6, v5 dst_sel:DWORD dst_unused:UNUSED_PAD src0_sel:DWORD src1_sel:WORD_1
	v_cvt_f32_f16_e32 v8, v8
	v_fma_f16 v5, v5, v7, -v6
	v_cvt_f32_f16_e32 v7, v5
	v_cvt_f64_f32_e32 v[5:6], v8
	v_cvt_f64_f32_e32 v[7:8], v7
	v_mul_f64 v[5:6], v[5:6], s[14:15]
	v_mul_f64 v[7:8], v[7:8], s[14:15]
	v_and_or_b32 v5, v6, s16, v5
	v_cmp_ne_u32_e32 vcc, 0, v5
	v_and_or_b32 v7, v8, s16, v7
	v_lshrrev_b32_e32 v9, 8, v6
	v_bfe_u32 v10, v6, 20, 11
	v_cndmask_b32_e64 v5, 0, 1, vcc
	v_cmp_ne_u32_e32 vcc, 0, v7
	v_lshrrev_b32_e32 v11, 8, v8
	v_bfe_u32 v12, v8, 20, 11
	v_sub_u32_e32 v13, 0x3f1, v10
	v_cndmask_b32_e64 v7, 0, 1, vcc
	v_and_or_b32 v5, v9, s10, v5
	v_sub_u32_e32 v14, 0x3f1, v12
	v_med3_i32 v9, v13, 0, 13
	v_and_or_b32 v7, v11, s10, v7
	v_or_b32_e32 v13, 0x1000, v5
	v_add_u32_e32 v10, 0xfffffc10, v10
	v_med3_i32 v11, v14, 0, 13
	v_cmp_ne_u32_e32 vcc, 0, v5
	v_or_b32_e32 v15, 0x1000, v7
	v_lshrrev_b32_e32 v17, v9, v13
	v_add_u32_e32 v12, 0xfffffc10, v12
	v_lshl_or_b32 v14, v10, 12, v5
	v_cndmask_b32_e64 v5, 0, 1, vcc
	v_cmp_ne_u32_e32 vcc, 0, v7
	v_lshrrev_b32_e32 v18, v11, v15
	v_lshlrev_b32_e32 v9, v9, v17
	v_lshl_or_b32 v16, v12, 12, v7
	v_cndmask_b32_e64 v7, 0, 1, vcc
	v_lshlrev_b32_e32 v11, v11, v18
	v_cmp_ne_u32_e32 vcc, v9, v13
	v_cndmask_b32_e64 v9, 0, 1, vcc
	v_cmp_ne_u32_e32 vcc, v11, v15
	v_cndmask_b32_e64 v11, 0, 1, vcc
	v_or_b32_e32 v9, v17, v9
	v_cmp_gt_i32_e32 vcc, 1, v10
	v_cndmask_b32_e32 v9, v14, v9, vcc
	v_or_b32_e32 v11, v18, v11
	v_cmp_gt_i32_e32 vcc, 1, v12
	v_and_b32_e32 v13, 7, v9
	v_cndmask_b32_e32 v11, v16, v11, vcc
	v_cmp_lt_i32_e32 vcc, 5, v13
	v_cmp_eq_u32_e64 s[0:1], 3, v13
	v_lshrrev_b32_e32 v9, 2, v9
	v_and_b32_e32 v14, 7, v11
	s_or_b64 vcc, s[0:1], vcc
	v_cmp_lt_i32_e64 s[2:3], 5, v14
	v_cmp_eq_u32_e64 s[4:5], 3, v14
	v_addc_co_u32_e32 v9, vcc, 0, v9, vcc
	v_lshrrev_b32_e32 v11, 2, v11
	s_or_b64 vcc, s[4:5], s[2:3]
	v_addc_co_u32_e32 v11, vcc, 0, v11, vcc
	v_cmp_gt_i32_e32 vcc, 31, v10
	v_cndmask_b32_e32 v9, v2, v9, vcc
	v_cmp_gt_i32_e32 vcc, 31, v12
	v_lshl_or_b32 v5, v5, 9, v2
	v_cndmask_b32_e32 v11, v2, v11, vcc
	v_cmp_eq_u32_e32 vcc, s18, v10
	v_lshrrev_b32_e32 v6, 16, v6
	v_lshl_or_b32 v7, v7, 9, v2
	v_cndmask_b32_e32 v5, v9, v5, vcc
	v_cmp_eq_u32_e32 vcc, s18, v12
	v_lshrrev_b32_e32 v8, 16, v8
	v_cndmask_b32_e32 v7, v11, v7, vcc
	v_and_or_b32 v5, v6, s17, v5
	v_and_or_b32 v6, v8, s17, v7
	v_and_b32_e32 v5, 0xffff, v5
	v_lshl_or_b32 v5, v6, 16, v5
	global_store_dword v[3:4], v5, off
	global_load_dword v7, v[0:1], off offset:524
	v_add_u32_e32 v5, 0x1000, v63
	ds_read2_b32 v[5:6], v5 offset0:131 offset1:236
	v_add_co_u32_e32 v3, vcc, s8, v3
	s_waitcnt lgkmcnt(0)
	v_lshrrev_b32_e32 v8, 16, v5
	s_waitcnt vmcnt(0)
	v_mul_f16_sdwa v9, v8, v7 dst_sel:DWORD dst_unused:UNUSED_PAD src0_sel:DWORD src1_sel:WORD_1
	v_fma_f16 v9, v5, v7, v9
	v_mul_f16_sdwa v5, v5, v7 dst_sel:DWORD dst_unused:UNUSED_PAD src0_sel:DWORD src1_sel:WORD_1
	v_cvt_f32_f16_e32 v9, v9
	v_fma_f16 v5, v7, v8, -v5
	v_cvt_f32_f16_e32 v5, v5
	v_cvt_f64_f32_e32 v[7:8], v9
	v_cvt_f64_f32_e32 v[9:10], v5
	v_mov_b32_e32 v5, s9
	v_mul_f64 v[7:8], v[7:8], s[14:15]
	v_addc_co_u32_e32 v4, vcc, v4, v5, vcc
	v_mul_f64 v[9:10], v[9:10], s[14:15]
	v_and_or_b32 v5, v8, s16, v7
	v_cmp_ne_u32_e32 vcc, 0, v5
	v_lshrrev_b32_e32 v7, 8, v8
	v_and_or_b32 v9, v10, s16, v9
	v_bfe_u32 v11, v8, 20, 11
	v_cndmask_b32_e64 v5, 0, 1, vcc
	v_cmp_ne_u32_e32 vcc, 0, v9
	v_lshrrev_b32_e32 v12, 8, v10
	v_bfe_u32 v13, v10, 20, 11
	v_sub_u32_e32 v14, 0x3f1, v11
	v_cndmask_b32_e64 v9, 0, 1, vcc
	v_and_or_b32 v5, v7, s10, v5
	v_sub_u32_e32 v15, 0x3f1, v13
	v_med3_i32 v7, v14, 0, 13
	v_and_or_b32 v9, v12, s10, v9
	v_or_b32_e32 v14, 0x1000, v5
	v_add_u32_e32 v11, 0xfffffc10, v11
	v_med3_i32 v12, v15, 0, 13
	v_cmp_ne_u32_e32 vcc, 0, v5
	v_or_b32_e32 v16, 0x1000, v9
	v_lshrrev_b32_e32 v18, v7, v14
	v_add_u32_e32 v13, 0xfffffc10, v13
	v_lshl_or_b32 v15, v11, 12, v5
	v_cndmask_b32_e64 v5, 0, 1, vcc
	v_cmp_ne_u32_e32 vcc, 0, v9
	v_lshrrev_b32_e32 v19, v12, v16
	v_lshlrev_b32_e32 v7, v7, v18
	v_lshl_or_b32 v17, v13, 12, v9
	v_cndmask_b32_e64 v9, 0, 1, vcc
	v_lshlrev_b32_e32 v12, v12, v19
	v_cmp_ne_u32_e32 vcc, v7, v14
	v_cndmask_b32_e64 v7, 0, 1, vcc
	v_cmp_ne_u32_e32 vcc, v12, v16
	v_cndmask_b32_e64 v12, 0, 1, vcc
	v_or_b32_e32 v7, v18, v7
	v_cmp_gt_i32_e32 vcc, 1, v11
	v_cndmask_b32_e32 v7, v15, v7, vcc
	v_or_b32_e32 v12, v19, v12
	v_cmp_gt_i32_e32 vcc, 1, v13
	v_and_b32_e32 v14, 7, v7
	v_cndmask_b32_e32 v12, v17, v12, vcc
	v_cmp_lt_i32_e32 vcc, 5, v14
	v_cmp_eq_u32_e64 s[0:1], 3, v14
	v_lshrrev_b32_e32 v7, 2, v7
	v_and_b32_e32 v15, 7, v12
	s_or_b64 vcc, s[0:1], vcc
	v_cmp_lt_i32_e64 s[2:3], 5, v15
	v_cmp_eq_u32_e64 s[4:5], 3, v15
	v_addc_co_u32_e32 v7, vcc, 0, v7, vcc
	v_lshrrev_b32_e32 v12, 2, v12
	s_or_b64 vcc, s[4:5], s[2:3]
	v_addc_co_u32_e32 v12, vcc, 0, v12, vcc
	v_cmp_gt_i32_e32 vcc, 31, v11
	v_cndmask_b32_e32 v7, v2, v7, vcc
	v_cmp_gt_i32_e32 vcc, 31, v13
	v_lshl_or_b32 v5, v5, 9, v2
	v_cndmask_b32_e32 v12, v2, v12, vcc
	v_cmp_eq_u32_e32 vcc, s18, v11
	v_lshrrev_b32_e32 v8, 16, v8
	v_lshl_or_b32 v9, v9, 9, v2
	v_cndmask_b32_e32 v5, v7, v5, vcc
	v_cmp_eq_u32_e32 vcc, s18, v13
	v_lshrrev_b32_e32 v10, 16, v10
	v_cndmask_b32_e32 v7, v12, v9, vcc
	v_and_or_b32 v5, v8, s17, v5
	v_and_or_b32 v7, v10, s17, v7
	v_and_b32_e32 v5, 0xffff, v5
	v_lshl_or_b32 v5, v7, 16, v5
	global_store_dword v[3:4], v5, off
	global_load_dword v5, v[0:1], off offset:944
	v_lshrrev_b32_e32 v7, 16, v6
	v_mov_b32_e32 v9, s9
	v_add_co_u32_e32 v3, vcc, s8, v3
	v_addc_co_u32_e32 v4, vcc, v4, v9, vcc
	s_waitcnt vmcnt(0)
	v_mul_f16_sdwa v8, v7, v5 dst_sel:DWORD dst_unused:UNUSED_PAD src0_sel:DWORD src1_sel:WORD_1
	v_fma_f16 v8, v6, v5, v8
	v_mul_f16_sdwa v6, v6, v5 dst_sel:DWORD dst_unused:UNUSED_PAD src0_sel:DWORD src1_sel:WORD_1
	v_cvt_f32_f16_e32 v8, v8
	v_fma_f16 v5, v5, v7, -v6
	v_cvt_f32_f16_e32 v7, v5
	v_cvt_f64_f32_e32 v[5:6], v8
	v_cvt_f64_f32_e32 v[7:8], v7
	v_mul_f64 v[5:6], v[5:6], s[14:15]
	v_mul_f64 v[7:8], v[7:8], s[14:15]
	v_and_or_b32 v5, v6, s16, v5
	v_cmp_ne_u32_e32 vcc, 0, v5
	v_and_or_b32 v7, v8, s16, v7
	v_lshrrev_b32_e32 v9, 8, v6
	v_bfe_u32 v10, v6, 20, 11
	v_cndmask_b32_e64 v5, 0, 1, vcc
	v_cmp_ne_u32_e32 vcc, 0, v7
	v_lshrrev_b32_e32 v11, 8, v8
	v_bfe_u32 v12, v8, 20, 11
	v_sub_u32_e32 v13, 0x3f1, v10
	v_cndmask_b32_e64 v7, 0, 1, vcc
	v_and_or_b32 v5, v9, s10, v5
	v_sub_u32_e32 v14, 0x3f1, v12
	v_med3_i32 v9, v13, 0, 13
	v_and_or_b32 v7, v11, s10, v7
	v_or_b32_e32 v13, 0x1000, v5
	v_add_u32_e32 v10, 0xfffffc10, v10
	v_med3_i32 v11, v14, 0, 13
	v_cmp_ne_u32_e32 vcc, 0, v5
	v_or_b32_e32 v15, 0x1000, v7
	v_lshrrev_b32_e32 v17, v9, v13
	v_add_u32_e32 v12, 0xfffffc10, v12
	v_lshl_or_b32 v14, v10, 12, v5
	v_cndmask_b32_e64 v5, 0, 1, vcc
	v_cmp_ne_u32_e32 vcc, 0, v7
	v_lshrrev_b32_e32 v18, v11, v15
	v_lshlrev_b32_e32 v9, v9, v17
	v_lshl_or_b32 v16, v12, 12, v7
	v_cndmask_b32_e64 v7, 0, 1, vcc
	v_lshlrev_b32_e32 v11, v11, v18
	v_cmp_ne_u32_e32 vcc, v9, v13
	v_cndmask_b32_e64 v9, 0, 1, vcc
	v_cmp_ne_u32_e32 vcc, v11, v15
	v_cndmask_b32_e64 v11, 0, 1, vcc
	v_or_b32_e32 v9, v17, v9
	v_cmp_gt_i32_e32 vcc, 1, v10
	v_cndmask_b32_e32 v9, v14, v9, vcc
	v_or_b32_e32 v11, v18, v11
	v_cmp_gt_i32_e32 vcc, 1, v12
	v_and_b32_e32 v13, 7, v9
	v_cndmask_b32_e32 v11, v16, v11, vcc
	v_cmp_lt_i32_e32 vcc, 5, v13
	v_cmp_eq_u32_e64 s[0:1], 3, v13
	v_lshrrev_b32_e32 v9, 2, v9
	v_and_b32_e32 v14, 7, v11
	s_or_b64 vcc, s[0:1], vcc
	v_cmp_lt_i32_e64 s[2:3], 5, v14
	v_cmp_eq_u32_e64 s[4:5], 3, v14
	v_addc_co_u32_e32 v9, vcc, 0, v9, vcc
	v_lshrrev_b32_e32 v11, 2, v11
	s_or_b64 vcc, s[4:5], s[2:3]
	v_addc_co_u32_e32 v11, vcc, 0, v11, vcc
	v_cmp_gt_i32_e32 vcc, 31, v10
	v_cndmask_b32_e32 v9, v2, v9, vcc
	v_cmp_gt_i32_e32 vcc, 31, v12
	v_lshl_or_b32 v5, v5, 9, v2
	v_cndmask_b32_e32 v11, v2, v11, vcc
	v_cmp_eq_u32_e32 vcc, s18, v10
	v_lshrrev_b32_e32 v6, 16, v6
	v_lshl_or_b32 v7, v7, 9, v2
	v_cndmask_b32_e32 v5, v9, v5, vcc
	v_cmp_eq_u32_e32 vcc, s18, v12
	v_lshrrev_b32_e32 v8, 16, v8
	v_cndmask_b32_e32 v7, v11, v7, vcc
	v_and_or_b32 v5, v6, s17, v5
	v_and_or_b32 v6, v8, s17, v7
	v_and_b32_e32 v5, 0xffff, v5
	v_lshl_or_b32 v5, v6, 16, v5
	global_store_dword v[3:4], v5, off
	global_load_dword v7, v[0:1], off offset:1364
	v_add_u32_e32 v5, 0x1400, v63
	ds_read2_b32 v[5:6], v5 offset0:85 offset1:190
	v_add_co_u32_e32 v3, vcc, s8, v3
	s_waitcnt lgkmcnt(0)
	v_lshrrev_b32_e32 v8, 16, v5
	s_waitcnt vmcnt(0)
	v_mul_f16_sdwa v9, v8, v7 dst_sel:DWORD dst_unused:UNUSED_PAD src0_sel:DWORD src1_sel:WORD_1
	v_fma_f16 v9, v5, v7, v9
	v_mul_f16_sdwa v5, v5, v7 dst_sel:DWORD dst_unused:UNUSED_PAD src0_sel:DWORD src1_sel:WORD_1
	v_cvt_f32_f16_e32 v9, v9
	v_fma_f16 v5, v7, v8, -v5
	v_cvt_f32_f16_e32 v5, v5
	v_cvt_f64_f32_e32 v[7:8], v9
	v_cvt_f64_f32_e32 v[9:10], v5
	v_mov_b32_e32 v5, s9
	v_mul_f64 v[7:8], v[7:8], s[14:15]
	v_addc_co_u32_e32 v4, vcc, v4, v5, vcc
	v_mul_f64 v[9:10], v[9:10], s[14:15]
	v_and_or_b32 v5, v8, s16, v7
	v_cmp_ne_u32_e32 vcc, 0, v5
	v_lshrrev_b32_e32 v7, 8, v8
	v_and_or_b32 v9, v10, s16, v9
	v_bfe_u32 v11, v8, 20, 11
	v_cndmask_b32_e64 v5, 0, 1, vcc
	v_cmp_ne_u32_e32 vcc, 0, v9
	v_lshrrev_b32_e32 v12, 8, v10
	v_bfe_u32 v13, v10, 20, 11
	v_sub_u32_e32 v14, 0x3f1, v11
	v_cndmask_b32_e64 v9, 0, 1, vcc
	v_and_or_b32 v5, v7, s10, v5
	v_sub_u32_e32 v15, 0x3f1, v13
	v_med3_i32 v7, v14, 0, 13
	v_and_or_b32 v9, v12, s10, v9
	v_or_b32_e32 v14, 0x1000, v5
	v_add_u32_e32 v11, 0xfffffc10, v11
	v_med3_i32 v12, v15, 0, 13
	v_cmp_ne_u32_e32 vcc, 0, v5
	v_or_b32_e32 v16, 0x1000, v9
	v_lshrrev_b32_e32 v18, v7, v14
	v_add_u32_e32 v13, 0xfffffc10, v13
	v_lshl_or_b32 v15, v11, 12, v5
	v_cndmask_b32_e64 v5, 0, 1, vcc
	v_cmp_ne_u32_e32 vcc, 0, v9
	v_lshrrev_b32_e32 v19, v12, v16
	v_lshlrev_b32_e32 v7, v7, v18
	v_lshl_or_b32 v17, v13, 12, v9
	v_cndmask_b32_e64 v9, 0, 1, vcc
	v_lshlrev_b32_e32 v12, v12, v19
	v_cmp_ne_u32_e32 vcc, v7, v14
	v_cndmask_b32_e64 v7, 0, 1, vcc
	v_cmp_ne_u32_e32 vcc, v12, v16
	v_cndmask_b32_e64 v12, 0, 1, vcc
	v_or_b32_e32 v7, v18, v7
	v_cmp_gt_i32_e32 vcc, 1, v11
	v_cndmask_b32_e32 v7, v15, v7, vcc
	v_or_b32_e32 v12, v19, v12
	v_cmp_gt_i32_e32 vcc, 1, v13
	v_and_b32_e32 v14, 7, v7
	v_cndmask_b32_e32 v12, v17, v12, vcc
	v_cmp_lt_i32_e32 vcc, 5, v14
	v_cmp_eq_u32_e64 s[0:1], 3, v14
	v_lshrrev_b32_e32 v7, 2, v7
	v_and_b32_e32 v15, 7, v12
	s_or_b64 vcc, s[0:1], vcc
	v_cmp_lt_i32_e64 s[2:3], 5, v15
	v_cmp_eq_u32_e64 s[4:5], 3, v15
	v_addc_co_u32_e32 v7, vcc, 0, v7, vcc
	v_lshrrev_b32_e32 v12, 2, v12
	s_or_b64 vcc, s[4:5], s[2:3]
	v_addc_co_u32_e32 v12, vcc, 0, v12, vcc
	v_cmp_gt_i32_e32 vcc, 31, v11
	v_cndmask_b32_e32 v7, v2, v7, vcc
	v_cmp_gt_i32_e32 vcc, 31, v13
	v_lshl_or_b32 v5, v5, 9, v2
	v_cndmask_b32_e32 v12, v2, v12, vcc
	v_cmp_eq_u32_e32 vcc, s18, v11
	v_lshrrev_b32_e32 v8, 16, v8
	v_lshl_or_b32 v9, v9, 9, v2
	v_cndmask_b32_e32 v5, v7, v5, vcc
	v_cmp_eq_u32_e32 vcc, s18, v13
	v_lshrrev_b32_e32 v10, 16, v10
	v_cndmask_b32_e32 v7, v12, v9, vcc
	v_and_or_b32 v5, v8, s17, v5
	v_and_or_b32 v7, v10, s17, v7
	v_and_b32_e32 v5, 0xffff, v5
	v_lshl_or_b32 v5, v7, 16, v5
	global_store_dword v[3:4], v5, off
	global_load_dword v5, v[0:1], off offset:1784
	v_lshrrev_b32_e32 v7, 16, v6
	v_mov_b32_e32 v9, s9
	v_add_co_u32_e32 v3, vcc, s8, v3
	v_addc_co_u32_e32 v4, vcc, v4, v9, vcc
	s_waitcnt vmcnt(0)
	v_mul_f16_sdwa v8, v7, v5 dst_sel:DWORD dst_unused:UNUSED_PAD src0_sel:DWORD src1_sel:WORD_1
	v_fma_f16 v8, v6, v5, v8
	v_mul_f16_sdwa v6, v6, v5 dst_sel:DWORD dst_unused:UNUSED_PAD src0_sel:DWORD src1_sel:WORD_1
	v_cvt_f32_f16_e32 v8, v8
	v_fma_f16 v5, v5, v7, -v6
	v_cvt_f32_f16_e32 v7, v5
	v_cvt_f64_f32_e32 v[5:6], v8
	v_cvt_f64_f32_e32 v[7:8], v7
	v_mul_f64 v[5:6], v[5:6], s[14:15]
	v_mul_f64 v[7:8], v[7:8], s[14:15]
	v_and_or_b32 v5, v6, s16, v5
	v_cmp_ne_u32_e32 vcc, 0, v5
	v_and_or_b32 v7, v8, s16, v7
	v_lshrrev_b32_e32 v9, 8, v6
	v_bfe_u32 v10, v6, 20, 11
	v_cndmask_b32_e64 v5, 0, 1, vcc
	v_cmp_ne_u32_e32 vcc, 0, v7
	v_lshrrev_b32_e32 v11, 8, v8
	v_bfe_u32 v12, v8, 20, 11
	v_sub_u32_e32 v13, 0x3f1, v10
	v_cndmask_b32_e64 v7, 0, 1, vcc
	v_and_or_b32 v5, v9, s10, v5
	v_sub_u32_e32 v14, 0x3f1, v12
	v_med3_i32 v9, v13, 0, 13
	v_and_or_b32 v7, v11, s10, v7
	v_or_b32_e32 v13, 0x1000, v5
	v_add_u32_e32 v10, 0xfffffc10, v10
	v_med3_i32 v11, v14, 0, 13
	v_cmp_ne_u32_e32 vcc, 0, v5
	v_or_b32_e32 v15, 0x1000, v7
	v_lshrrev_b32_e32 v17, v9, v13
	v_add_u32_e32 v12, 0xfffffc10, v12
	v_lshl_or_b32 v14, v10, 12, v5
	v_cndmask_b32_e64 v5, 0, 1, vcc
	v_cmp_ne_u32_e32 vcc, 0, v7
	v_lshrrev_b32_e32 v18, v11, v15
	v_lshlrev_b32_e32 v9, v9, v17
	v_lshl_or_b32 v16, v12, 12, v7
	v_cndmask_b32_e64 v7, 0, 1, vcc
	v_lshlrev_b32_e32 v11, v11, v18
	v_cmp_ne_u32_e32 vcc, v9, v13
	v_cndmask_b32_e64 v9, 0, 1, vcc
	v_cmp_ne_u32_e32 vcc, v11, v15
	v_cndmask_b32_e64 v11, 0, 1, vcc
	v_or_b32_e32 v9, v17, v9
	v_cmp_gt_i32_e32 vcc, 1, v10
	v_cndmask_b32_e32 v9, v14, v9, vcc
	v_or_b32_e32 v11, v18, v11
	v_cmp_gt_i32_e32 vcc, 1, v12
	v_and_b32_e32 v13, 7, v9
	v_cndmask_b32_e32 v11, v16, v11, vcc
	v_cmp_lt_i32_e32 vcc, 5, v13
	v_cmp_eq_u32_e64 s[0:1], 3, v13
	v_lshrrev_b32_e32 v9, 2, v9
	v_and_b32_e32 v14, 7, v11
	s_or_b64 vcc, s[0:1], vcc
	v_cmp_lt_i32_e64 s[2:3], 5, v14
	v_cmp_eq_u32_e64 s[4:5], 3, v14
	v_addc_co_u32_e32 v9, vcc, 0, v9, vcc
	v_lshrrev_b32_e32 v11, 2, v11
	s_or_b64 vcc, s[4:5], s[2:3]
	v_addc_co_u32_e32 v11, vcc, 0, v11, vcc
	v_cmp_gt_i32_e32 vcc, 31, v10
	v_cndmask_b32_e32 v9, v2, v9, vcc
	v_cmp_gt_i32_e32 vcc, 31, v12
	v_lshl_or_b32 v5, v5, 9, v2
	v_cndmask_b32_e32 v11, v2, v11, vcc
	v_cmp_eq_u32_e32 vcc, s18, v10
	v_lshrrev_b32_e32 v6, 16, v6
	v_lshl_or_b32 v7, v7, 9, v2
	v_cndmask_b32_e32 v5, v9, v5, vcc
	v_cmp_eq_u32_e32 vcc, s18, v12
	v_lshrrev_b32_e32 v8, 16, v8
	v_cndmask_b32_e32 v7, v11, v7, vcc
	v_and_or_b32 v5, v6, s17, v5
	v_and_or_b32 v6, v8, s17, v7
	v_and_b32_e32 v5, 0xffff, v5
	v_lshl_or_b32 v5, v6, 16, v5
	global_store_dword v[3:4], v5, off
	global_load_dword v7, v[0:1], off offset:2204
	v_add_u32_e32 v5, 0x1800, v63
	ds_read2_b32 v[5:6], v5 offset0:39 offset1:144
	v_add_co_u32_e32 v3, vcc, s8, v3
	s_waitcnt lgkmcnt(0)
	v_lshrrev_b32_e32 v8, 16, v5
	s_waitcnt vmcnt(0)
	v_mul_f16_sdwa v9, v8, v7 dst_sel:DWORD dst_unused:UNUSED_PAD src0_sel:DWORD src1_sel:WORD_1
	v_fma_f16 v9, v5, v7, v9
	v_mul_f16_sdwa v5, v5, v7 dst_sel:DWORD dst_unused:UNUSED_PAD src0_sel:DWORD src1_sel:WORD_1
	v_cvt_f32_f16_e32 v9, v9
	v_fma_f16 v5, v7, v8, -v5
	v_cvt_f32_f16_e32 v5, v5
	v_cvt_f64_f32_e32 v[7:8], v9
	v_cvt_f64_f32_e32 v[9:10], v5
	v_mov_b32_e32 v5, s9
	v_mul_f64 v[7:8], v[7:8], s[14:15]
	v_addc_co_u32_e32 v4, vcc, v4, v5, vcc
	v_mul_f64 v[9:10], v[9:10], s[14:15]
	v_and_or_b32 v5, v8, s16, v7
	v_cmp_ne_u32_e32 vcc, 0, v5
	v_lshrrev_b32_e32 v7, 8, v8
	v_and_or_b32 v9, v10, s16, v9
	v_bfe_u32 v11, v8, 20, 11
	v_cndmask_b32_e64 v5, 0, 1, vcc
	v_cmp_ne_u32_e32 vcc, 0, v9
	v_lshrrev_b32_e32 v12, 8, v10
	v_bfe_u32 v13, v10, 20, 11
	v_sub_u32_e32 v14, 0x3f1, v11
	v_cndmask_b32_e64 v9, 0, 1, vcc
	v_and_or_b32 v5, v7, s10, v5
	v_sub_u32_e32 v15, 0x3f1, v13
	v_med3_i32 v7, v14, 0, 13
	v_and_or_b32 v9, v12, s10, v9
	v_or_b32_e32 v14, 0x1000, v5
	v_add_u32_e32 v11, 0xfffffc10, v11
	v_med3_i32 v12, v15, 0, 13
	v_cmp_ne_u32_e32 vcc, 0, v5
	v_or_b32_e32 v16, 0x1000, v9
	v_lshrrev_b32_e32 v18, v7, v14
	v_add_u32_e32 v13, 0xfffffc10, v13
	v_lshl_or_b32 v15, v11, 12, v5
	v_cndmask_b32_e64 v5, 0, 1, vcc
	v_cmp_ne_u32_e32 vcc, 0, v9
	v_lshrrev_b32_e32 v19, v12, v16
	v_lshlrev_b32_e32 v7, v7, v18
	v_lshl_or_b32 v17, v13, 12, v9
	v_cndmask_b32_e64 v9, 0, 1, vcc
	v_lshlrev_b32_e32 v12, v12, v19
	v_cmp_ne_u32_e32 vcc, v7, v14
	v_cndmask_b32_e64 v7, 0, 1, vcc
	v_cmp_ne_u32_e32 vcc, v12, v16
	v_cndmask_b32_e64 v12, 0, 1, vcc
	v_or_b32_e32 v7, v18, v7
	v_cmp_gt_i32_e32 vcc, 1, v11
	v_cndmask_b32_e32 v7, v15, v7, vcc
	v_or_b32_e32 v12, v19, v12
	v_cmp_gt_i32_e32 vcc, 1, v13
	v_and_b32_e32 v14, 7, v7
	v_cndmask_b32_e32 v12, v17, v12, vcc
	v_cmp_lt_i32_e32 vcc, 5, v14
	v_cmp_eq_u32_e64 s[0:1], 3, v14
	v_lshrrev_b32_e32 v7, 2, v7
	v_and_b32_e32 v15, 7, v12
	s_or_b64 vcc, s[0:1], vcc
	v_cmp_lt_i32_e64 s[2:3], 5, v15
	v_cmp_eq_u32_e64 s[4:5], 3, v15
	v_addc_co_u32_e32 v7, vcc, 0, v7, vcc
	v_lshrrev_b32_e32 v12, 2, v12
	s_or_b64 vcc, s[4:5], s[2:3]
	v_addc_co_u32_e32 v12, vcc, 0, v12, vcc
	v_cmp_gt_i32_e32 vcc, 31, v11
	v_cndmask_b32_e32 v7, v2, v7, vcc
	v_cmp_gt_i32_e32 vcc, 31, v13
	v_lshl_or_b32 v5, v5, 9, v2
	v_cndmask_b32_e32 v12, v2, v12, vcc
	v_cmp_eq_u32_e32 vcc, s18, v11
	v_lshrrev_b32_e32 v8, 16, v8
	v_lshl_or_b32 v9, v9, 9, v2
	v_cndmask_b32_e32 v5, v7, v5, vcc
	v_cmp_eq_u32_e32 vcc, s18, v13
	v_lshrrev_b32_e32 v10, 16, v10
	v_cndmask_b32_e32 v7, v12, v9, vcc
	v_and_or_b32 v5, v8, s17, v5
	v_and_or_b32 v7, v10, s17, v7
	v_and_b32_e32 v5, 0xffff, v5
	v_lshl_or_b32 v5, v7, 16, v5
	global_store_dword v[3:4], v5, off
	global_load_dword v0, v[0:1], off offset:2624
	v_lshrrev_b32_e32 v1, 16, v6
	v_mov_b32_e32 v7, s9
	s_waitcnt vmcnt(0)
	v_mul_f16_sdwa v5, v1, v0 dst_sel:DWORD dst_unused:UNUSED_PAD src0_sel:DWORD src1_sel:WORD_1
	v_fma_f16 v5, v6, v0, v5
	v_mul_f16_sdwa v6, v6, v0 dst_sel:DWORD dst_unused:UNUSED_PAD src0_sel:DWORD src1_sel:WORD_1
	v_cvt_f32_f16_e32 v5, v5
	v_fma_f16 v0, v0, v1, -v6
	v_cvt_f32_f16_e32 v6, v0
	v_cvt_f64_f32_e32 v[0:1], v5
	v_cvt_f64_f32_e32 v[5:6], v6
	v_mul_f64 v[0:1], v[0:1], s[14:15]
	v_mul_f64 v[5:6], v[5:6], s[14:15]
	v_and_or_b32 v0, v1, s16, v0
	v_cmp_ne_u32_e32 vcc, 0, v0
	v_and_or_b32 v5, v6, s16, v5
	v_lshrrev_b32_e32 v8, 8, v1
	v_bfe_u32 v9, v1, 20, 11
	v_cndmask_b32_e64 v0, 0, 1, vcc
	v_cmp_ne_u32_e32 vcc, 0, v5
	v_lshrrev_b32_e32 v10, 8, v6
	v_bfe_u32 v11, v6, 20, 11
	v_sub_u32_e32 v12, 0x3f1, v9
	v_cndmask_b32_e64 v5, 0, 1, vcc
	v_and_or_b32 v0, v8, s10, v0
	v_sub_u32_e32 v13, 0x3f1, v11
	v_med3_i32 v8, v12, 0, 13
	v_and_or_b32 v5, v10, s10, v5
	v_or_b32_e32 v12, 0x1000, v0
	v_add_u32_e32 v9, 0xfffffc10, v9
	v_med3_i32 v10, v13, 0, 13
	v_cmp_ne_u32_e32 vcc, 0, v0
	v_or_b32_e32 v14, 0x1000, v5
	v_lshrrev_b32_e32 v16, v8, v12
	v_add_u32_e32 v11, 0xfffffc10, v11
	v_lshl_or_b32 v13, v9, 12, v0
	v_cndmask_b32_e64 v0, 0, 1, vcc
	v_cmp_ne_u32_e32 vcc, 0, v5
	v_lshrrev_b32_e32 v17, v10, v14
	v_lshlrev_b32_e32 v8, v8, v16
	v_lshl_or_b32 v15, v11, 12, v5
	v_cndmask_b32_e64 v5, 0, 1, vcc
	v_lshlrev_b32_e32 v10, v10, v17
	v_cmp_ne_u32_e32 vcc, v8, v12
	v_cndmask_b32_e64 v8, 0, 1, vcc
	v_cmp_ne_u32_e32 vcc, v10, v14
	v_cndmask_b32_e64 v10, 0, 1, vcc
	v_or_b32_e32 v8, v16, v8
	v_cmp_gt_i32_e32 vcc, 1, v9
	v_cndmask_b32_e32 v8, v13, v8, vcc
	v_or_b32_e32 v10, v17, v10
	v_cmp_gt_i32_e32 vcc, 1, v11
	v_and_b32_e32 v12, 7, v8
	v_cndmask_b32_e32 v10, v15, v10, vcc
	v_cmp_lt_i32_e32 vcc, 5, v12
	v_cmp_eq_u32_e64 s[0:1], 3, v12
	v_lshrrev_b32_e32 v8, 2, v8
	v_and_b32_e32 v13, 7, v10
	s_or_b64 vcc, s[0:1], vcc
	v_cmp_lt_i32_e64 s[2:3], 5, v13
	v_cmp_eq_u32_e64 s[4:5], 3, v13
	v_addc_co_u32_e32 v8, vcc, 0, v8, vcc
	v_lshrrev_b32_e32 v10, 2, v10
	s_or_b64 vcc, s[4:5], s[2:3]
	v_addc_co_u32_e32 v10, vcc, 0, v10, vcc
	v_cmp_gt_i32_e32 vcc, 31, v9
	v_cndmask_b32_e32 v8, v2, v8, vcc
	v_cmp_gt_i32_e32 vcc, 31, v11
	v_lshl_or_b32 v0, v0, 9, v2
	v_lshl_or_b32 v5, v5, 9, v2
	v_cndmask_b32_e32 v2, v2, v10, vcc
	v_cmp_eq_u32_e32 vcc, s18, v9
	v_lshrrev_b32_e32 v1, 16, v1
	v_cndmask_b32_e32 v0, v8, v0, vcc
	v_cmp_eq_u32_e32 vcc, s18, v11
	v_lshrrev_b32_e32 v6, 16, v6
	v_cndmask_b32_e32 v2, v2, v5, vcc
	v_and_or_b32 v0, v1, s17, v0
	v_and_or_b32 v1, v6, s17, v2
	v_and_b32_e32 v0, 0xffff, v0
	v_lshl_or_b32 v2, v1, 16, v0
	v_add_co_u32_e32 v0, vcc, s8, v3
	v_addc_co_u32_e32 v1, vcc, v4, v7, vcc
	global_store_dword v[0:1], v2, off
.LBB0_23:
	s_endpgm
	.section	.rodata,"a",@progbits
	.p2align	6, 0x0
	.amdhsa_kernel bluestein_single_fwd_len1785_dim1_half_op_CI_CI
		.amdhsa_group_segment_fixed_size 7140
		.amdhsa_private_segment_fixed_size 28
		.amdhsa_kernarg_size 104
		.amdhsa_user_sgpr_count 6
		.amdhsa_user_sgpr_private_segment_buffer 1
		.amdhsa_user_sgpr_dispatch_ptr 0
		.amdhsa_user_sgpr_queue_ptr 0
		.amdhsa_user_sgpr_kernarg_segment_ptr 1
		.amdhsa_user_sgpr_dispatch_id 0
		.amdhsa_user_sgpr_flat_scratch_init 0
		.amdhsa_user_sgpr_private_segment_size 0
		.amdhsa_uses_dynamic_stack 0
		.amdhsa_system_sgpr_private_segment_wavefront_offset 1
		.amdhsa_system_sgpr_workgroup_id_x 1
		.amdhsa_system_sgpr_workgroup_id_y 0
		.amdhsa_system_sgpr_workgroup_id_z 0
		.amdhsa_system_sgpr_workgroup_info 0
		.amdhsa_system_vgpr_workitem_id 0
		.amdhsa_next_free_vgpr 256
		.amdhsa_next_free_sgpr 44
		.amdhsa_reserve_vcc 1
		.amdhsa_reserve_flat_scratch 0
		.amdhsa_float_round_mode_32 0
		.amdhsa_float_round_mode_16_64 0
		.amdhsa_float_denorm_mode_32 3
		.amdhsa_float_denorm_mode_16_64 3
		.amdhsa_dx10_clamp 1
		.amdhsa_ieee_mode 1
		.amdhsa_fp16_overflow 0
		.amdhsa_exception_fp_ieee_invalid_op 0
		.amdhsa_exception_fp_denorm_src 0
		.amdhsa_exception_fp_ieee_div_zero 0
		.amdhsa_exception_fp_ieee_overflow 0
		.amdhsa_exception_fp_ieee_underflow 0
		.amdhsa_exception_fp_ieee_inexact 0
		.amdhsa_exception_int_div_zero 0
	.end_amdhsa_kernel
	.text
.Lfunc_end0:
	.size	bluestein_single_fwd_len1785_dim1_half_op_CI_CI, .Lfunc_end0-bluestein_single_fwd_len1785_dim1_half_op_CI_CI
                                        ; -- End function
	.section	.AMDGPU.csdata,"",@progbits
; Kernel info:
; codeLenInByte = 33272
; NumSgprs: 48
; NumVgprs: 256
; ScratchSize: 28
; MemoryBound: 0
; FloatMode: 240
; IeeeMode: 1
; LDSByteSize: 7140 bytes/workgroup (compile time only)
; SGPRBlocks: 5
; VGPRBlocks: 63
; NumSGPRsForWavesPerEU: 48
; NumVGPRsForWavesPerEU: 256
; Occupancy: 1
; WaveLimiterHint : 1
; COMPUTE_PGM_RSRC2:SCRATCH_EN: 1
; COMPUTE_PGM_RSRC2:USER_SGPR: 6
; COMPUTE_PGM_RSRC2:TRAP_HANDLER: 0
; COMPUTE_PGM_RSRC2:TGID_X_EN: 1
; COMPUTE_PGM_RSRC2:TGID_Y_EN: 0
; COMPUTE_PGM_RSRC2:TGID_Z_EN: 0
; COMPUTE_PGM_RSRC2:TIDIG_COMP_CNT: 0
	.type	__hip_cuid_445367f93c033aef,@object ; @__hip_cuid_445367f93c033aef
	.section	.bss,"aw",@nobits
	.globl	__hip_cuid_445367f93c033aef
__hip_cuid_445367f93c033aef:
	.byte	0                               ; 0x0
	.size	__hip_cuid_445367f93c033aef, 1

	.ident	"AMD clang version 19.0.0git (https://github.com/RadeonOpenCompute/llvm-project roc-6.4.0 25133 c7fe45cf4b819c5991fe208aaa96edf142730f1d)"
	.section	".note.GNU-stack","",@progbits
	.addrsig
	.addrsig_sym __hip_cuid_445367f93c033aef
	.amdgpu_metadata
---
amdhsa.kernels:
  - .args:
      - .actual_access:  read_only
        .address_space:  global
        .offset:         0
        .size:           8
        .value_kind:     global_buffer
      - .actual_access:  read_only
        .address_space:  global
        .offset:         8
        .size:           8
        .value_kind:     global_buffer
      - .actual_access:  read_only
        .address_space:  global
        .offset:         16
        .size:           8
        .value_kind:     global_buffer
      - .actual_access:  read_only
        .address_space:  global
        .offset:         24
        .size:           8
        .value_kind:     global_buffer
      - .actual_access:  read_only
        .address_space:  global
        .offset:         32
        .size:           8
        .value_kind:     global_buffer
      - .offset:         40
        .size:           8
        .value_kind:     by_value
      - .address_space:  global
        .offset:         48
        .size:           8
        .value_kind:     global_buffer
      - .address_space:  global
        .offset:         56
        .size:           8
        .value_kind:     global_buffer
      - .address_space:  global
        .offset:         64
        .size:           8
        .value_kind:     global_buffer
      - .address_space:  global
        .offset:         72
        .size:           8
        .value_kind:     global_buffer
      - .offset:         80
        .size:           4
        .value_kind:     by_value
      - .address_space:  global
        .offset:         88
        .size:           8
        .value_kind:     global_buffer
      - .address_space:  global
        .offset:         96
        .size:           8
        .value_kind:     global_buffer
    .group_segment_fixed_size: 7140
    .kernarg_segment_align: 8
    .kernarg_segment_size: 104
    .language:       OpenCL C
    .language_version:
      - 2
      - 0
    .max_flat_workgroup_size: 119
    .name:           bluestein_single_fwd_len1785_dim1_half_op_CI_CI
    .private_segment_fixed_size: 28
    .sgpr_count:     48
    .sgpr_spill_count: 0
    .symbol:         bluestein_single_fwd_len1785_dim1_half_op_CI_CI.kd
    .uniform_work_group_size: 1
    .uses_dynamic_stack: false
    .vgpr_count:     256
    .vgpr_spill_count: 6
    .wavefront_size: 64
amdhsa.target:   amdgcn-amd-amdhsa--gfx906
amdhsa.version:
  - 1
  - 2
...

	.end_amdgpu_metadata
